;; amdgpu-corpus repo=zjin-lcf/HeCBench kind=compiled arch=gfx906 opt=O3
	.amdgcn_target "amdgcn-amd-amdhsa--gfx906"
	.amdhsa_code_object_version 6
	.section	.text._Z21generate_paths_kernelILi256E9PayoffPutEviiT0_ddddPKdPd,"axG",@progbits,_Z21generate_paths_kernelILi256E9PayoffPutEviiT0_ddddPKdPd,comdat
	.protected	_Z21generate_paths_kernelILi256E9PayoffPutEviiT0_ddddPKdPd ; -- Begin function _Z21generate_paths_kernelILi256E9PayoffPutEviiT0_ddddPKdPd
	.globl	_Z21generate_paths_kernelILi256E9PayoffPutEviiT0_ddddPKdPd
	.p2align	8
	.type	_Z21generate_paths_kernelILi256E9PayoffPutEviiT0_ddddPKdPd,@function
_Z21generate_paths_kernelILi256E9PayoffPutEviiT0_ddddPKdPd: ; @_Z21generate_paths_kernelILi256E9PayoffPutEviiT0_ddddPKdPd
; %bb.0:
	s_load_dwordx2 s[20:21], s[4:5], 0x0
	v_lshl_or_b32 v2, s6, 8, v0
	s_waitcnt lgkmcnt(0)
	v_cmp_gt_i32_e32 vcc, s21, v2
	s_and_saveexec_b64 s[0:1], vcc
	s_cbranch_execz .LBB0_6
; %bb.1:
	s_load_dwordx8 s[8:15], s[4:5], 0x8
	v_mov_b32_e32 v0, 0
	v_bfrev_b32_e32 v1, 8
	s_load_dwordx4 s[16:19], s[4:5], 0x28
	s_load_dwordx2 s[6:7], s[4:5], 0x38
	v_mov_b32_e32 v11, 0x260
	s_waitcnt lgkmcnt(0)
	v_cmp_lt_f64_e32 vcc, s[10:11], v[0:1]
	v_mul_f64 v[9:10], s[16:17], -0.5
	s_and_b64 s[0:1], vcc, exec
	s_cselect_b32 s0, 0x100, 0
	v_mov_b32_e32 v0, s0
	v_ldexp_f64 v[0:1], s[10:11], v0
	s_cselect_b32 s0, 0xffffff80, 0
	s_cmp_lt_i32 s20, 2
	v_rsq_f64_e32 v[3:4], v[0:1]
	v_cmp_class_f64_e32 vcc, v[0:1], v11
	v_mul_f64 v[5:6], v[0:1], v[3:4]
	v_mul_f64 v[3:4], v[3:4], 0.5
	v_fma_f64 v[7:8], -v[3:4], v[5:6], 0.5
	v_fma_f64 v[5:6], v[5:6], v[7:8], v[5:6]
	v_fma_f64 v[3:4], v[3:4], v[7:8], v[3:4]
	v_fma_f64 v[7:8], -v[5:6], v[5:6], v[0:1]
	v_fma_f64 v[5:6], v[7:8], v[3:4], v[5:6]
	v_fma_f64 v[7:8], -v[5:6], v[5:6], v[0:1]
	v_fma_f64 v[3:4], v[7:8], v[3:4], v[5:6]
	v_mov_b32_e32 v5, s14
	v_mov_b32_e32 v6, s15
	v_fma_f64 v[5:6], s[16:17], v[9:10], v[5:6]
	v_ldexp_f64 v[7:8], v[3:4], s0
	v_mul_f64 v[4:5], s[10:11], v[5:6]
	v_cndmask_b32_e32 v1, v8, v1, vcc
	v_cndmask_b32_e32 v0, v7, v0, vcc
	v_mul_f64 v[6:7], v[0:1], s[16:17]
	s_cbranch_scc1 .LBB0_4
; %bb.2:
	v_ashrrev_i32_e32 v3, 31, v2
	v_mov_b32_e32 v0, s12
	v_lshlrev_b64 v[8:9], 3, v[2:3]
	s_ashr_i32 s1, s21, 31
	s_mov_b32 s0, s21
	v_mov_b32_e32 v1, s13
	s_mov_b32 s10, 0x652b82fe
	s_mov_b32 s12, 0xfefa39ef
	;; [unrolled: 1-line block ×14, first 2 shown]
	s_add_i32 s20, s20, -1
	s_lshl_b64 s[4:5], s[0:1], 3
	s_mov_b32 s11, 0x3ff71547
	s_mov_b32 s13, 0xbfe62e42
	;; [unrolled: 1-line block ×14, first 2 shown]
	v_mov_b32_e32 v10, 0xfca7ab0c
	v_mov_b32_e32 v11, 0x3e928af3
	;; [unrolled: 1-line block ×3, first 2 shown]
.LBB0_3:                                ; =>This Inner Loop Header: Depth=1
	v_mov_b32_e32 v13, s19
	v_add_co_u32_e32 v12, vcc, s18, v8
	v_addc_co_u32_e32 v13, vcc, v13, v9, vcc
	global_load_dwordx2 v[12:13], v[12:13], off
	s_add_i32 s20, s20, -1
	v_add_u32_e32 v2, s21, v2
	s_waitcnt vmcnt(0)
	v_fma_f64 v[12:13], v[6:7], v[12:13], v[4:5]
	v_mul_f64 v[14:15], v[12:13], s[10:11]
	v_cmp_nlt_f64_e32 vcc, s[40:41], v[12:13]
	v_cmp_ngt_f64_e64 s[0:1], s[42:43], v[12:13]
	v_rndne_f64_e32 v[14:15], v[14:15]
	v_fma_f64 v[16:17], v[14:15], s[12:13], v[12:13]
	v_add_co_u32_e64 v12, s[2:3], s6, v8
	v_fma_f64 v[16:17], v[14:15], s[14:15], v[16:17]
	v_cvt_i32_f64_e32 v14, v[14:15]
	v_fma_f64 v[18:19], v[16:17], s[16:17], v[10:11]
	v_fma_f64 v[18:19], v[16:17], v[18:19], s[22:23]
	v_fma_f64 v[18:19], v[16:17], v[18:19], s[24:25]
	v_fma_f64 v[18:19], v[16:17], v[18:19], s[26:27]
	v_fma_f64 v[18:19], v[16:17], v[18:19], s[28:29]
	v_fma_f64 v[18:19], v[16:17], v[18:19], s[30:31]
	v_fma_f64 v[18:19], v[16:17], v[18:19], s[34:35]
	v_fma_f64 v[18:19], v[16:17], v[18:19], s[36:37]
	v_fma_f64 v[18:19], v[16:17], v[18:19], s[38:39]
	v_fma_f64 v[18:19], v[16:17], v[18:19], 1.0
	v_fma_f64 v[16:17], v[16:17], v[18:19], 1.0
	v_ldexp_f64 v[14:15], v[16:17], v14
	v_mov_b32_e32 v16, s7
	v_mov_b32_e32 v17, s5
	v_cndmask_b32_e32 v15, v3, v15, vcc
	s_and_b64 vcc, s[0:1], vcc
	v_cndmask_b32_e64 v15, 0, v15, s[0:1]
	v_cndmask_b32_e32 v14, 0, v14, vcc
	v_mul_f64 v[0:1], v[0:1], v[14:15]
	v_add_co_u32_e32 v8, vcc, s4, v8
	v_addc_co_u32_e64 v13, s[0:1], v16, v9, s[2:3]
	v_addc_co_u32_e32 v9, vcc, v9, v17, vcc
	s_cmp_eq_u32 s20, 0
	global_store_dwordx2 v[12:13], v[0:1], off
	s_cbranch_scc0 .LBB0_3
	s_branch .LBB0_5
.LBB0_4:
	v_mov_b32_e32 v0, s12
	v_mov_b32_e32 v1, s13
.LBB0_5:
	v_ashrrev_i32_e32 v3, 31, v2
	v_lshlrev_b64 v[2:3], 3, v[2:3]
	v_mov_b32_e32 v9, s19
	v_add_co_u32_e32 v8, vcc, s18, v2
	v_addc_co_u32_e32 v9, vcc, v9, v3, vcc
	global_load_dwordx2 v[8:9], v[8:9], off
	s_mov_b32 s0, 0x652b82fe
	s_mov_b32 s1, 0x3ff71547
	v_mov_b32_e32 v10, 0xfca7ab0c
	v_mov_b32_e32 v11, 0x3e928af3
	s_mov_b32 s2, 0
	s_mov_b32 s3, 0xc090cc00
	s_waitcnt vmcnt(0)
	v_fma_f64 v[4:5], v[6:7], v[8:9], v[4:5]
	v_mul_f64 v[6:7], v[4:5], s[0:1]
	s_mov_b32 s0, 0xfefa39ef
	s_mov_b32 s1, 0xbfe62e42
	v_rndne_f64_e32 v[6:7], v[6:7]
	v_fma_f64 v[8:9], v[6:7], s[0:1], v[4:5]
	s_mov_b32 s0, 0x3b39803f
	s_mov_b32 s1, 0xbc7abc9e
	v_fma_f64 v[8:9], v[6:7], s[0:1], v[8:9]
	s_mov_b32 s0, 0x6a5dcb37
	s_mov_b32 s1, 0x3e5ade15
	v_cvt_i32_f64_e32 v6, v[6:7]
	v_fma_f64 v[10:11], v[8:9], s[0:1], v[10:11]
	s_mov_b32 s0, 0x623fde64
	s_mov_b32 s1, 0x3ec71dee
	v_fma_f64 v[10:11], v[8:9], v[10:11], s[0:1]
	s_mov_b32 s0, 0x7c89e6b0
	s_mov_b32 s1, 0x3efa0199
	;; [unrolled: 3-line block ×9, first 2 shown]
	v_cmp_nlt_f64_e32 vcc, s[0:1], v[4:5]
	v_cmp_ngt_f64_e64 s[0:1], s[2:3], v[4:5]
	v_fma_f64 v[10:11], v[8:9], v[10:11], 1.0
	v_fma_f64 v[8:9], v[8:9], v[10:11], 1.0
	v_ldexp_f64 v[6:7], v[8:9], v6
	v_mov_b32_e32 v8, 0x7ff00000
	v_cndmask_b32_e32 v7, v8, v7, vcc
	s_and_b64 vcc, s[0:1], vcc
	v_cndmask_b32_e64 v5, 0, v7, s[0:1]
	v_cndmask_b32_e32 v4, 0, v6, vcc
	v_fma_f64 v[0:1], -v[0:1], v[4:5], s[8:9]
	v_mov_b32_e32 v4, s7
	v_add_co_u32_e32 v2, vcc, s6, v2
	v_addc_co_u32_e32 v3, vcc, v4, v3, vcc
	v_max_f64 v[0:1], v[0:1], 0
	global_store_dwordx2 v[2:3], v[0:1], off
.LBB0_6:
	s_endpgm
	.section	.rodata,"a",@progbits
	.p2align	6, 0x0
	.amdhsa_kernel _Z21generate_paths_kernelILi256E9PayoffPutEviiT0_ddddPKdPd
		.amdhsa_group_segment_fixed_size 0
		.amdhsa_private_segment_fixed_size 0
		.amdhsa_kernarg_size 64
		.amdhsa_user_sgpr_count 6
		.amdhsa_user_sgpr_private_segment_buffer 1
		.amdhsa_user_sgpr_dispatch_ptr 0
		.amdhsa_user_sgpr_queue_ptr 0
		.amdhsa_user_sgpr_kernarg_segment_ptr 1
		.amdhsa_user_sgpr_dispatch_id 0
		.amdhsa_user_sgpr_flat_scratch_init 0
		.amdhsa_user_sgpr_private_segment_size 0
		.amdhsa_uses_dynamic_stack 0
		.amdhsa_system_sgpr_private_segment_wavefront_offset 0
		.amdhsa_system_sgpr_workgroup_id_x 1
		.amdhsa_system_sgpr_workgroup_id_y 0
		.amdhsa_system_sgpr_workgroup_id_z 0
		.amdhsa_system_sgpr_workgroup_info 0
		.amdhsa_system_vgpr_workitem_id 0
		.amdhsa_next_free_vgpr 20
		.amdhsa_next_free_sgpr 44
		.amdhsa_reserve_vcc 1
		.amdhsa_reserve_flat_scratch 0
		.amdhsa_float_round_mode_32 0
		.amdhsa_float_round_mode_16_64 0
		.amdhsa_float_denorm_mode_32 3
		.amdhsa_float_denorm_mode_16_64 3
		.amdhsa_dx10_clamp 1
		.amdhsa_ieee_mode 1
		.amdhsa_fp16_overflow 0
		.amdhsa_exception_fp_ieee_invalid_op 0
		.amdhsa_exception_fp_denorm_src 0
		.amdhsa_exception_fp_ieee_div_zero 0
		.amdhsa_exception_fp_ieee_overflow 0
		.amdhsa_exception_fp_ieee_underflow 0
		.amdhsa_exception_fp_ieee_inexact 0
		.amdhsa_exception_int_div_zero 0
	.end_amdhsa_kernel
	.section	.text._Z21generate_paths_kernelILi256E9PayoffPutEviiT0_ddddPKdPd,"axG",@progbits,_Z21generate_paths_kernelILi256E9PayoffPutEviiT0_ddddPKdPd,comdat
.Lfunc_end0:
	.size	_Z21generate_paths_kernelILi256E9PayoffPutEviiT0_ddddPKdPd, .Lfunc_end0-_Z21generate_paths_kernelILi256E9PayoffPutEviiT0_ddddPKdPd
                                        ; -- End function
	.set _Z21generate_paths_kernelILi256E9PayoffPutEviiT0_ddddPKdPd.num_vgpr, 20
	.set _Z21generate_paths_kernelILi256E9PayoffPutEviiT0_ddddPKdPd.num_agpr, 0
	.set _Z21generate_paths_kernelILi256E9PayoffPutEviiT0_ddddPKdPd.numbered_sgpr, 44
	.set _Z21generate_paths_kernelILi256E9PayoffPutEviiT0_ddddPKdPd.num_named_barrier, 0
	.set _Z21generate_paths_kernelILi256E9PayoffPutEviiT0_ddddPKdPd.private_seg_size, 0
	.set _Z21generate_paths_kernelILi256E9PayoffPutEviiT0_ddddPKdPd.uses_vcc, 1
	.set _Z21generate_paths_kernelILi256E9PayoffPutEviiT0_ddddPKdPd.uses_flat_scratch, 0
	.set _Z21generate_paths_kernelILi256E9PayoffPutEviiT0_ddddPKdPd.has_dyn_sized_stack, 0
	.set _Z21generate_paths_kernelILi256E9PayoffPutEviiT0_ddddPKdPd.has_recursion, 0
	.set _Z21generate_paths_kernelILi256E9PayoffPutEviiT0_ddddPKdPd.has_indirect_call, 0
	.section	.AMDGPU.csdata,"",@progbits
; Kernel info:
; codeLenInByte = 1276
; TotalNumSgprs: 48
; NumVgprs: 20
; ScratchSize: 0
; MemoryBound: 0
; FloatMode: 240
; IeeeMode: 1
; LDSByteSize: 0 bytes/workgroup (compile time only)
; SGPRBlocks: 5
; VGPRBlocks: 4
; NumSGPRsForWavesPerEU: 48
; NumVGPRsForWavesPerEU: 20
; Occupancy: 10
; WaveLimiterHint : 0
; COMPUTE_PGM_RSRC2:SCRATCH_EN: 0
; COMPUTE_PGM_RSRC2:USER_SGPR: 6
; COMPUTE_PGM_RSRC2:TRAP_HANDLER: 0
; COMPUTE_PGM_RSRC2:TGID_X_EN: 1
; COMPUTE_PGM_RSRC2:TGID_Y_EN: 0
; COMPUTE_PGM_RSRC2:TGID_Z_EN: 0
; COMPUTE_PGM_RSRC2:TIDIG_COMP_CNT: 0
	.section	.text._Z18prepare_svd_kernelILi256E9PayoffPutEviiT0_PKdPiPd,"axG",@progbits,_Z18prepare_svd_kernelILi256E9PayoffPutEviiT0_PKdPiPd,comdat
	.protected	_Z18prepare_svd_kernelILi256E9PayoffPutEviiT0_PKdPiPd ; -- Begin function _Z18prepare_svd_kernelILi256E9PayoffPutEviiT0_PKdPiPd
	.globl	_Z18prepare_svd_kernelILi256E9PayoffPutEviiT0_PKdPiPd
	.p2align	8
	.type	_Z18prepare_svd_kernelILi256E9PayoffPutEviiT0_PKdPiPd,@function
_Z18prepare_svd_kernelILi256E9PayoffPutEviiT0_PKdPiPd: ; @_Z18prepare_svd_kernelILi256E9PayoffPutEviiT0_PKdPiPd
; %bb.0:
	s_mov_b64 s[30:31], s[2:3]
	s_mov_b64 s[28:29], s[0:1]
	s_add_u32 s28, s28, s7
	s_addc_u32 s29, s29, 0
	v_cmp_gt_u32_e64 s[0:1], 12, v0
	s_and_saveexec_b64 s[2:3], s[0:1]
; %bb.1:
	v_mov_b32_e32 v1, 0
	v_lshlrev_b32_e32 v3, 3, v0
	v_mov_b32_e32 v2, v1
	ds_write_b64 v3, v[1:2] offset:2096
; %bb.2:
	s_or_b64 exec, exec, s[2:3]
	s_load_dwordx2 s[16:17], s[4:5], 0x0
	s_load_dwordx4 s[8:11], s[4:5], 0x18
	v_mov_b32_e32 v1, 0
	v_mov_b32_e32 v3, 0
	;; [unrolled: 1-line block ×4, first 2 shown]
	s_waitcnt lgkmcnt(0)
	v_cmp_gt_i32_e32 vcc, s16, v0
	v_mov_b32_e32 v2, 0
	v_mov_b32_e32 v4, 0
	;; [unrolled: 1-line block ×5, first 2 shown]
	s_barrier
	s_and_saveexec_b64 s[18:19], vcc
	s_cbranch_execz .LBB1_22
; %bb.3:
	s_load_dwordx4 s[12:15], s[4:5], 0x8
	v_lshlrev_b32_e32 v1, 2, v0
	v_add_u32_e32 v12, 0x430, v1
	v_add_u32_e32 v14, 32, v1
	v_mov_b32_e32 v1, 0
	v_mov_b32_e32 v3, 0
	;; [unrolled: 1-line block ×4, first 2 shown]
	s_mul_i32 s7, s16, s6
	v_mov_b32_e32 v13, 0
	v_cmp_eq_u32_e64 s[2:3], 0, v0
	v_mov_b32_e32 v2, 0
	s_mov_b64 s[20:21], 0
	s_waitcnt lgkmcnt(0)
	v_mov_b32_e32 v15, s15
	v_mov_b32_e32 v11, 0
	;; [unrolled: 1-line block ×7, first 2 shown]
	s_branch .LBB1_5
.LBB1_4:                                ;   in Loop: Header=BB1_5 Depth=1
	v_add_u32_e32 v17, 0x100, v17
	v_cmp_le_i32_e32 vcc, s16, v17
	s_or_b64 s[20:21], vcc, s[20:21]
	s_andn2_b64 exec, exec, s[20:21]
	s_cbranch_execz .LBB1_21
.LBB1_5:                                ; =>This Loop Header: Depth=1
                                        ;     Child Loop BB1_7 Depth 2
                                        ;     Child Loop BB1_16 Depth 2
	v_add_u32_e32 v9, s7, v17
	v_ashrrev_i32_e32 v10, 31, v9
	v_lshlrev_b64 v[9:10], 3, v[9:10]
	v_add_co_u32_e32 v9, vcc, s14, v9
	v_addc_co_u32_e32 v10, vcc, v15, v10, vcc
	global_load_dwordx2 v[9:10], v[9:10], off
	s_waitcnt vmcnt(0)
	v_cmp_gt_f64_e64 s[4:5], s[12:13], v[9:10]
	v_cndmask_b32_e64 v18, 0, 1, s[4:5]
	ds_write_b32 v12, v18
	s_waitcnt lgkmcnt(0)
	s_barrier
	s_and_saveexec_b64 s[22:23], s[2:3]
	s_cbranch_execz .LBB1_8
; %bb.6:                                ;   in Loop: Header=BB1_5 Depth=1
	s_mov_b32 s15, 0
	v_mov_b32_e32 v19, 0
	ds_write_b32 v13, v13 offset:32
.LBB1_7:                                ;   Parent Loop BB1_5 Depth=1
                                        ; =>  This Inner Loop Header: Depth=2
	s_add_i32 s24, s15, 0x430
	v_mov_b32_e32 v20, s24
	ds_read2_b32 v[20:21], v20 offset1:1
	v_mov_b32_e32 v22, s15
	s_add_i32 s24, s15, 0x438
	s_waitcnt lgkmcnt(0)
	v_add_u32_e32 v19, v20, v19
	v_add_u32_e32 v21, v21, v19
	ds_write2_b32 v22, v19, v21 offset0:9 offset1:10
	v_mov_b32_e32 v19, s24
	ds_read2_b32 v[19:20], v19 offset1:1
	s_add_i32 s24, s15, 0x440
	s_waitcnt lgkmcnt(0)
	v_add_u32_e32 v19, v19, v21
	v_add_u32_e32 v21, v20, v19
	ds_write2_b32 v22, v19, v21 offset0:11 offset1:12
	v_mov_b32_e32 v19, s24
	ds_read2_b32 v[19:20], v19 offset1:1
	s_add_i32 s24, s15, 0x448
	s_waitcnt lgkmcnt(0)
	v_add_u32_e32 v19, v19, v21
	v_add_u32_e32 v21, v20, v19
	ds_write2_b32 v22, v19, v21 offset0:13 offset1:14
	v_mov_b32_e32 v19, s24
	ds_read2_b32 v[19:20], v19 offset1:1
	s_add_i32 s24, s15, 0x450
	s_waitcnt lgkmcnt(0)
	v_add_u32_e32 v19, v19, v21
	v_add_u32_e32 v21, v20, v19
	ds_write2_b32 v22, v19, v21 offset0:15 offset1:16
	v_mov_b32_e32 v19, s24
	ds_read2_b32 v[19:20], v19 offset1:1
	s_add_i32 s24, s15, 0x458
	s_waitcnt lgkmcnt(0)
	v_add_u32_e32 v19, v19, v21
	v_add_u32_e32 v21, v20, v19
	ds_write2_b32 v22, v19, v21 offset0:17 offset1:18
	v_mov_b32_e32 v19, s24
	ds_read2_b32 v[19:20], v19 offset1:1
	s_add_i32 s24, s15, 0x460
	s_waitcnt lgkmcnt(0)
	v_add_u32_e32 v19, v19, v21
	v_add_u32_e32 v21, v20, v19
	ds_write2_b32 v22, v19, v21 offset0:19 offset1:20
	v_mov_b32_e32 v19, s24
	ds_read2_b32 v[19:20], v19 offset1:1
	s_add_i32 s24, s15, 0x468
	s_add_i32 s15, s15, 64
	s_cmpk_lg_i32 s15, 0x400
	s_waitcnt lgkmcnt(0)
	v_add_u32_e32 v19, v19, v21
	v_add_u32_e32 v21, v20, v19
	ds_write2_b32 v22, v19, v21 offset0:21 offset1:22
	v_mov_b32_e32 v19, s24
	ds_read2_b32 v[19:20], v19 offset1:1
	s_waitcnt lgkmcnt(0)
	v_add_u32_e32 v21, v19, v21
	v_add_u32_e32 v19, v20, v21
	ds_write2_b32 v22, v21, v19 offset0:23 offset1:24
	s_cbranch_scc1 .LBB1_7
.LBB1_8:                                ;   in Loop: Header=BB1_5 Depth=1
	s_or_b64 exec, exec, s[22:23]
	v_cmp_lt_i32_e32 vcc, 2, v16
	s_waitcnt lgkmcnt(0)
	s_barrier
	s_cbranch_vccnz .LBB1_13
; %bb.9:                                ;   in Loop: Header=BB1_5 Depth=1
	ds_read_b32 v19, v13 offset:1056
	s_and_saveexec_b64 s[22:23], s[4:5]
	s_cbranch_execz .LBB1_12
; %bb.10:                               ;   in Loop: Header=BB1_5 Depth=1
	ds_read_b32 v20, v14
	s_waitcnt lgkmcnt(0)
	v_add_u32_e32 v20, v20, v16
	v_cmp_gt_i32_e32 vcc, 3, v20
	s_and_b64 exec, exec, vcc
; %bb.11:                               ;   in Loop: Header=BB1_5 Depth=1
	v_lshlrev_b32_e32 v20, 3, v20
	ds_write_b64 v20, v[9:10] offset:2096
.LBB1_12:                               ;   in Loop: Header=BB1_5 Depth=1
	s_or_b64 exec, exec, s[22:23]
	s_waitcnt lgkmcnt(0)
	v_add_u32_e32 v16, v19, v16
	s_barrier
.LBB1_13:                               ;   in Loop: Header=BB1_5 Depth=1
	s_and_saveexec_b64 s[22:23], s[2:3]
; %bb.14:                               ;   in Loop: Header=BB1_5 Depth=1
	ds_write_b32 v13, v13 offset:1060
; %bb.15:                               ;   in Loop: Header=BB1_5 Depth=1
	s_or_b64 exec, exec, s[22:23]
	s_mov_b64 s[22:23], exec
	s_mov_b32 s15, 0
	s_waitcnt lgkmcnt(0)
	s_barrier
.LBB1_16:                               ;   Parent Loop BB1_5 Depth=1
                                        ; =>  This Inner Loop Header: Depth=2
	s_ff1_i32_b64 s24, s[22:23]
	v_readlane_b32 s26, v18, s24
	s_lshl_b64 s[24:25], 1, s24
	s_or_b32 s15, s15, s26
	s_andn2_b64 s[22:23], s[22:23], s[24:25]
	s_cmp_lg_u64 s[22:23], 0
	s_cbranch_scc1 .LBB1_16
; %bb.17:                               ;   in Loop: Header=BB1_5 Depth=1
	v_mbcnt_lo_u32_b32 v19, exec_lo, 0
	v_mbcnt_hi_u32_b32 v19, exec_hi, v19
	v_cmp_eq_u32_e32 vcc, 0, v19
	s_and_saveexec_b64 s[22:23], vcc
	s_xor_b64 s[22:23], exec, s[22:23]
; %bb.18:                               ;   in Loop: Header=BB1_5 Depth=1
	v_mov_b32_e32 v19, s15
	ds_or_b32 v13, v19 offset:1060
; %bb.19:                               ;   in Loop: Header=BB1_5 Depth=1
	s_or_b64 exec, exec, s[22:23]
	s_waitcnt lgkmcnt(0)
	s_barrier
	ds_read_b32 v19, v13 offset:1060
	s_waitcnt lgkmcnt(0)
	v_cmp_eq_u32_e32 vcc, 0, v19
	s_cbranch_vccnz .LBB1_4
; %bb.20:                               ;   in Loop: Header=BB1_5 Depth=1
	v_mul_f64 v[19:20], v[9:10], v[9:10]
	v_cndmask_b32_e64 v10, 0, v10, s[4:5]
	v_cndmask_b32_e64 v9, 0, v9, s[4:5]
	v_add_f64 v[7:8], v[7:8], v[9:10]
	v_add_u32_e32 v11, v11, v18
	v_cndmask_b32_e64 v20, 0, v20, s[4:5]
	v_cndmask_b32_e64 v19, 0, v19, s[4:5]
	v_add_f64 v[5:6], v[5:6], v[19:20]
	v_fma_f64 v[3:4], v[19:20], v[9:10], v[3:4]
	v_fma_f64 v[1:2], v[19:20], v[19:20], v[1:2]
	s_branch .LBB1_4
.LBB1_21:
	s_or_b64 exec, exec, s[20:21]
.LBB1_22:
	s_or_b64 exec, exec, s[18:19]
	s_mov_b32 s4, 0
	v_cmp_eq_u32_e32 vcc, 0, v0
	s_barrier
	s_and_saveexec_b64 s[2:3], vcc
; %bb.23:
	v_mov_b32_e32 v9, 0
	ds_write_b32 v9, v9 offset:1060
; %bb.24:
	s_or_b64 exec, exec, s[2:3]
	s_mov_b64 s[2:3], exec
	s_waitcnt lgkmcnt(0)
	s_barrier
.LBB1_25:                               ; =>This Inner Loop Header: Depth=1
	s_ff1_i32_b64 s5, s[2:3]
	v_readlane_b32 s7, v11, s5
	s_lshl_b64 s[12:13], 1, s5
	s_add_i32 s4, s4, s7
	s_andn2_b64 s[2:3], s[2:3], s[12:13]
	s_cmp_lg_u64 s[2:3], 0
	s_cbranch_scc1 .LBB1_25
; %bb.26:
	v_mbcnt_lo_u32_b32 v9, exec_lo, 0
	v_mbcnt_hi_u32_b32 v9, exec_hi, v9
	v_cmp_eq_u32_e64 s[2:3], 0, v9
	s_and_saveexec_b64 s[12:13], s[2:3]
	s_xor_b64 s[2:3], exec, s[12:13]
; %bb.27:
	v_mov_b32_e32 v9, 0
	v_mov_b32_e32 v10, s4
	ds_add_u32 v9, v10 offset:1060
; %bb.28:
	s_or_b64 exec, exec, s[2:3]
	v_mov_b32_e32 v9, 0
	s_waitcnt lgkmcnt(0)
	s_barrier
	ds_read_b32 v9, v9 offset:1060
	s_waitcnt lgkmcnt(0)
	v_readfirstlane_b32 s2, v9
	s_cmp_ge_i32 s2, s17
	s_cselect_b64 s[2:3], -1, 0
	s_xor_b64 s[4:5], vcc, -1
	s_or_b64 s[2:3], s[4:5], s[2:3]
	s_and_saveexec_b64 s[4:5], s[2:3]
	s_xor_b64 s[12:13], exec, s[4:5]
	s_cbranch_execnz .LBB1_31
; %bb.29:
	s_andn2_saveexec_b64 s[0:1], s[12:13]
	s_cbranch_execnz .LBB1_92
.LBB1_30:
	s_endpgm
.LBB1_31:
	s_and_saveexec_b64 s[2:3], vcc
	s_cbranch_execz .LBB1_33
; %bb.32:
	s_mov_b32 s16, 0
	s_mov_b32 s17, s16
	;; [unrolled: 1-line block ×4, first 2 shown]
	v_mov_b32_e32 v9, s16
	v_mov_b32_e32 v13, 0
	;; [unrolled: 1-line block ×5, first 2 shown]
	ds_write_b128 v13, v[9:12]
	ds_write_b128 v13, v[9:12] offset:16
.LBB1_33:
	s_or_b64 exec, exec, s[2:3]
	v_mov_b32_e32 v9, 0
	s_mov_b64 s[2:3], exec
	v_bfrev_b32_e32 v10, 1
	s_waitcnt lgkmcnt(0)
	s_barrier
.LBB1_34:                               ; =>This Inner Loop Header: Depth=1
	s_ff1_i32_b64 s7, s[2:3]
	v_readlane_b32 s5, v8, s7
	v_readlane_b32 s4, v7, s7
	v_add_f64 v[9:10], v[9:10], s[4:5]
	s_lshl_b64 s[4:5], 1, s7
	s_andn2_b64 s[2:3], s[2:3], s[4:5]
	s_cmp_lg_u64 s[2:3], 0
	s_cbranch_scc1 .LBB1_34
; %bb.35:
	v_mbcnt_lo_u32_b32 v7, exec_lo, 0
	v_mbcnt_hi_u32_b32 v7, exec_hi, v7
	v_cmp_eq_u32_e64 s[2:3], 0, v7
	s_and_saveexec_b64 s[4:5], s[2:3]
	s_xor_b64 s[4:5], exec, s[4:5]
	s_cbranch_execz .LBB1_39
; %bb.36:
	v_mov_b32_e32 v11, 0
	ds_read_b64 v[7:8], v11
	s_mov_b64 s[14:15], 0
.LBB1_37:                               ; =>This Inner Loop Header: Depth=1
	s_waitcnt lgkmcnt(0)
	v_add_f64 v[12:13], v[7:8], v[9:10]
	ds_cmpst_rtn_b64 v[12:13], v11, v[7:8], v[12:13]
	s_waitcnt lgkmcnt(0)
	v_cmp_eq_u64_e64 s[2:3], v[12:13], v[7:8]
	v_mov_b32_e32 v7, v12
	s_or_b64 s[14:15], s[2:3], s[14:15]
	v_mov_b32_e32 v8, v13
	s_andn2_b64 exec, exec, s[14:15]
	s_cbranch_execnz .LBB1_37
; %bb.38:
	s_or_b64 exec, exec, s[14:15]
.LBB1_39:
	s_or_b64 exec, exec, s[4:5]
	v_mov_b32_e32 v7, 0
	s_mov_b64 s[2:3], exec
	v_bfrev_b32_e32 v8, 1
.LBB1_40:                               ; =>This Inner Loop Header: Depth=1
	s_ff1_i32_b64 s7, s[2:3]
	v_readlane_b32 s5, v6, s7
	v_readlane_b32 s4, v5, s7
	v_add_f64 v[7:8], v[7:8], s[4:5]
	s_lshl_b64 s[4:5], 1, s7
	s_andn2_b64 s[2:3], s[2:3], s[4:5]
	s_cmp_lg_u64 s[2:3], 0
	s_cbranch_scc1 .LBB1_40
; %bb.41:
	v_mbcnt_lo_u32_b32 v5, exec_lo, 0
	v_mbcnt_hi_u32_b32 v5, exec_hi, v5
	v_cmp_eq_u32_e64 s[2:3], 0, v5
	s_and_saveexec_b64 s[4:5], s[2:3]
	s_xor_b64 s[4:5], exec, s[4:5]
	s_cbranch_execz .LBB1_45
; %bb.42:
	v_mov_b32_e32 v9, 0
	ds_read_b64 v[5:6], v9 offset:8
	s_mov_b64 s[14:15], 0
.LBB1_43:                               ; =>This Inner Loop Header: Depth=1
	s_waitcnt lgkmcnt(0)
	v_add_f64 v[10:11], v[5:6], v[7:8]
	ds_cmpst_rtn_b64 v[10:11], v9, v[5:6], v[10:11] offset:8
	s_waitcnt lgkmcnt(0)
	v_cmp_eq_u64_e64 s[2:3], v[10:11], v[5:6]
	v_mov_b32_e32 v5, v10
	s_or_b64 s[14:15], s[2:3], s[14:15]
	v_mov_b32_e32 v6, v11
	s_andn2_b64 exec, exec, s[14:15]
	s_cbranch_execnz .LBB1_43
; %bb.44:
	s_or_b64 exec, exec, s[14:15]
.LBB1_45:
	s_or_b64 exec, exec, s[4:5]
	v_mov_b32_e32 v5, 0
	s_mov_b64 s[2:3], exec
	v_bfrev_b32_e32 v6, 1
.LBB1_46:                               ; =>This Inner Loop Header: Depth=1
	s_ff1_i32_b64 s7, s[2:3]
	v_readlane_b32 s5, v4, s7
	v_readlane_b32 s4, v3, s7
	v_add_f64 v[5:6], v[5:6], s[4:5]
	s_lshl_b64 s[4:5], 1, s7
	s_andn2_b64 s[2:3], s[2:3], s[4:5]
	s_cmp_lg_u64 s[2:3], 0
	s_cbranch_scc1 .LBB1_46
; %bb.47:
	v_mbcnt_lo_u32_b32 v3, exec_lo, 0
	v_mbcnt_hi_u32_b32 v3, exec_hi, v3
	v_cmp_eq_u32_e64 s[2:3], 0, v3
	s_and_saveexec_b64 s[4:5], s[2:3]
	s_xor_b64 s[4:5], exec, s[4:5]
	s_cbranch_execz .LBB1_51
; %bb.48:
	v_mov_b32_e32 v7, 0
	ds_read_b64 v[3:4], v7 offset:16
	s_mov_b64 s[14:15], 0
.LBB1_49:                               ; =>This Inner Loop Header: Depth=1
	s_waitcnt lgkmcnt(0)
	v_add_f64 v[8:9], v[3:4], v[5:6]
	ds_cmpst_rtn_b64 v[8:9], v7, v[3:4], v[8:9] offset:16
	s_waitcnt lgkmcnt(0)
	v_cmp_eq_u64_e64 s[2:3], v[8:9], v[3:4]
	v_mov_b32_e32 v3, v8
	s_or_b64 s[14:15], s[2:3], s[14:15]
	v_mov_b32_e32 v4, v9
	s_andn2_b64 exec, exec, s[14:15]
	s_cbranch_execnz .LBB1_49
; %bb.50:
	s_or_b64 exec, exec, s[14:15]
.LBB1_51:
	;; [unrolled: 38-line block ×3, first 2 shown]
	s_or_b64 exec, exec, s[4:5]
	s_barrier
	s_and_saveexec_b64 s[14:15], vcc
	s_cbranch_execz .LBB1_89
; %bb.58:
	v_mov_b32_e32 v41, 0
	ds_read_b32 v1, v41 offset:1060
	ds_read_b128 v[5:8], v41 offset:2096
	s_mov_b32 s4, 0
	s_brev_b32 s5, 8
	v_mov_b32_e32 v43, 0x260
	s_waitcnt lgkmcnt(1)
	v_cvt_f64_i32_e32 v[17:18], v1
	s_waitcnt lgkmcnt(0)
	v_mul_f64 v[35:36], v[5:6], v[5:6]
	v_cmp_gt_f64_e32 vcc, s[4:5], v[17:18]
	s_and_b64 s[2:3], vcc, exec
	s_cselect_b32 s2, 0x100, 0
	v_ldexp_f64 v[1:2], v[17:18], s2
	s_cselect_b32 s2, 0xffffff80, 0
	v_rsq_f64_e32 v[3:4], v[1:2]
	v_cmp_class_f64_e32 vcc, v[1:2], v43
	v_mul_f64 v[9:10], v[1:2], v[3:4]
	v_mul_f64 v[3:4], v[3:4], 0.5
	v_fma_f64 v[11:12], -v[3:4], v[9:10], 0.5
	v_fma_f64 v[9:10], v[9:10], v[11:12], v[9:10]
	v_fma_f64 v[3:4], v[3:4], v[11:12], v[3:4]
	v_fma_f64 v[11:12], -v[9:10], v[9:10], v[1:2]
	v_fma_f64 v[9:10], v[11:12], v[3:4], v[9:10]
	v_fma_f64 v[11:12], -v[9:10], v[9:10], v[1:2]
	v_fma_f64 v[3:4], v[11:12], v[3:4], v[9:10]
	v_add_f64 v[9:10], v[17:18], -1.0
	v_ldexp_f64 v[3:4], v[3:4], s2
	v_cndmask_b32_e32 v2, v4, v2, vcc
	v_cndmask_b32_e32 v1, v3, v1, vcc
	v_add_f64 v[3:4], v[1:2], 1.0
	v_div_scale_f64 v[11:12], s[2:3], v[3:4], v[3:4], -v[9:10]
	v_rcp_f64_e32 v[13:14], v[11:12]
	v_fma_f64 v[15:16], -v[11:12], v[13:14], 1.0
	v_fma_f64 v[13:14], v[13:14], v[15:16], v[13:14]
	v_div_scale_f64 v[15:16], vcc, -v[9:10], v[3:4], -v[9:10]
	v_fma_f64 v[19:20], -v[11:12], v[13:14], 1.0
	v_fma_f64 v[13:14], v[13:14], v[19:20], v[13:14]
	v_mul_f64 v[19:20], v[15:16], v[13:14]
	v_fma_f64 v[11:12], -v[11:12], v[19:20], v[15:16]
	v_div_fmas_f64 v[11:12], v[11:12], v[13:14], v[19:20]
	v_div_fixup_f64 v[15:16], v[11:12], v[3:4], -v[9:10]
	v_mul_f64 v[3:4], v[15:16], v[15:16]
	v_fma_f64 v[9:10], v[15:16], v[15:16], v[9:10]
	v_div_scale_f64 v[13:14], s[2:3], v[15:16], v[15:16], 1.0
	v_add_f64 v[3:4], v[3:4], v[3:4]
	v_div_scale_f64 v[11:12], s[2:3], v[9:10], v[9:10], v[3:4]
	v_rcp_f64_e32 v[21:22], v[13:14]
	v_div_scale_f64 v[27:28], s[2:3], 1.0, v[15:16], 1.0
	v_rcp_f64_e32 v[19:20], v[11:12]
	v_fma_f64 v[25:26], -v[13:14], v[21:22], 1.0
	v_fma_f64 v[21:22], v[21:22], v[25:26], v[21:22]
	v_fma_f64 v[23:24], -v[11:12], v[19:20], 1.0
	v_fma_f64 v[29:30], -v[13:14], v[21:22], 1.0
	v_fma_f64 v[19:20], v[19:20], v[23:24], v[19:20]
	v_div_scale_f64 v[23:24], vcc, v[3:4], v[9:10], v[3:4]
	v_fma_f64 v[21:22], v[21:22], v[29:30], v[21:22]
	v_fma_f64 v[25:26], -v[11:12], v[19:20], 1.0
	v_mul_f64 v[29:30], v[27:28], v[21:22]
	v_fma_f64 v[19:20], v[19:20], v[25:26], v[19:20]
	v_fma_f64 v[13:14], -v[13:14], v[29:30], v[27:28]
	v_mul_f64 v[25:26], v[23:24], v[19:20]
	v_fma_f64 v[11:12], -v[11:12], v[25:26], v[23:24]
	v_div_fmas_f64 v[11:12], v[11:12], v[19:20], v[25:26]
	s_mov_b64 vcc, s[2:3]
	v_div_fmas_f64 v[13:14], v[13:14], v[21:22], v[29:30]
	s_mov_b32 s2, 0x97d889bc
	s_mov_b32 s3, 0x3c9cd2b2
	v_div_fixup_f64 v[3:4], v[11:12], v[9:10], v[3:4]
	ds_read_b128 v[19:22], v41
	ds_read_b128 v[9:12], v41 offset:16
	v_div_fixup_f64 v[39:40], v[13:14], v[15:16], 1.0
	s_waitcnt lgkmcnt(1)
	v_add_f64 v[13:14], v[19:20], -v[5:6]
	v_fma_f64 v[33:34], -v[5:6], v[5:6], v[21:22]
	v_add_f64 v[21:22], v[17:18], -2.0
	v_mul_f64 v[29:30], v[39:40], v[3:4]
	v_fma_f64 v[23:24], -v[7:8], v[7:8], v[33:34]
	v_mul_f64 v[31:32], v[39:40], v[29:30]
	v_mul_f64 v[44:45], v[33:34], v[29:30]
	;; [unrolled: 1-line block ×3, first 2 shown]
	v_fma_f64 v[27:28], v[5:6], v[29:30], v[19:20]
	v_add_f64 v[19:20], v[13:14], -v[7:8]
	v_add_f64 v[25:26], v[27:28], v[27:28]
	v_mul_f64 v[37:38], v[21:22], v[27:28]
	v_fma_f64 v[21:22], -v[19:20], v[25:26], v[23:24]
	v_add_f64 v[25:26], -v[3:4], 1.0
	v_mul_f64 v[3:4], v[13:14], v[29:30]
	v_fma_f64 v[13:14], v[27:28], v[37:38], v[21:22]
	v_fma_f64 v[44:45], v[35:36], v[25:26], -v[44:45]
	v_fma_f64 v[3:4], v[5:6], v[25:26], -v[3:4]
	ds_read_b64 v[25:26], v41 offset:2112
	v_add_f64 v[21:22], v[7:8], -v[27:28]
	buffer_store_dword v1, off, s[28:31], 0 offset:24 ; 4-byte Folded Spill
	s_nop 0
	buffer_store_dword v2, off, s[28:31], 0 offset:28 ; 4-byte Folded Spill
	buffer_store_dword v3, off, s[28:31], 0 offset:32 ; 4-byte Folded Spill
	;; [unrolled: 1-line block ×3, first 2 shown]
	v_cmp_lt_f64_e64 s[2:3], |v[13:14]|, s[2:3]
	s_and_b64 vcc, exec, s[2:3]
	ds_write_b128 v41, v[1:4] offset:2096
	buffer_store_dword v44, off, s[28:31], 0 offset:40 ; 4-byte Folded Spill
	s_nop 0
	buffer_store_dword v45, off, s[28:31], 0 offset:44 ; 4-byte Folded Spill
	ds_write_b64 v41, v[44:45] offset:2112
	v_mov_b32_e32 v41, 0
	v_mov_b32_e32 v42, 0
	s_cbranch_vccnz .LBB1_64
; %bb.59:
	v_fma_f64 v[15:16], v[21:22], v[21:22], v[13:14]
	v_cmp_gt_f64_e32 vcc, s[4:5], v[15:16]
	s_mov_b64 s[4:5], 0
	s_and_b64 s[2:3], vcc, exec
	s_cselect_b32 s2, 0x100, 0
	v_ldexp_f64 v[15:16], v[15:16], s2
	s_cselect_b32 s2, 0xffffff80, 0
	v_cmp_nge_f64_e32 vcc, 0, v[21:22]
	v_rsq_f64_e32 v[39:40], v[15:16]
	s_and_b64 vcc, exec, vcc
	v_mul_f64 v[41:42], v[15:16], v[39:40]
	v_mul_f64 v[39:40], v[39:40], 0.5
	v_fma_f64 v[44:45], -v[39:40], v[41:42], 0.5
	v_fma_f64 v[41:42], v[41:42], v[44:45], v[41:42]
	v_fma_f64 v[39:40], v[39:40], v[44:45], v[39:40]
	v_fma_f64 v[44:45], -v[41:42], v[41:42], v[15:16]
	v_fma_f64 v[41:42], v[44:45], v[39:40], v[41:42]
	v_fma_f64 v[44:45], -v[41:42], v[41:42], v[15:16]
	v_fma_f64 v[39:40], v[44:45], v[39:40], v[41:42]
	v_ldexp_f64 v[39:40], v[39:40], s2
	v_cmp_class_f64_e64 s[2:3], v[15:16], v43
	v_cndmask_b32_e64 v40, v40, v16, s[2:3]
	v_cndmask_b32_e64 v39, v39, v15, s[2:3]
	s_cbranch_vccnz .LBB1_61
; %bb.60:
	v_add_f64 v[15:16], v[21:22], -v[39:40]
	s_andn2_b64 vcc, exec, s[4:5]
	s_cbranch_vccz .LBB1_62
	s_branch .LBB1_63
.LBB1_61:
                                        ; implicit-def: $vgpr15_vgpr16
.LBB1_62:
	v_add_f64 v[15:16], v[21:22], v[39:40]
	v_div_scale_f64 v[39:40], s[2:3], v[15:16], v[15:16], -v[13:14]
	v_div_scale_f64 v[45:46], vcc, -v[13:14], v[15:16], -v[13:14]
	v_rcp_f64_e32 v[41:42], v[39:40]
	v_fma_f64 v[43:44], -v[39:40], v[41:42], 1.0
	v_fma_f64 v[41:42], v[41:42], v[43:44], v[41:42]
	v_fma_f64 v[43:44], -v[39:40], v[41:42], 1.0
	v_fma_f64 v[41:42], v[41:42], v[43:44], v[41:42]
	v_mul_f64 v[43:44], v[45:46], v[41:42]
	v_fma_f64 v[39:40], -v[39:40], v[43:44], v[45:46]
	v_div_fmas_f64 v[39:40], v[39:40], v[41:42], v[43:44]
	v_div_fixup_f64 v[15:16], v[39:40], v[15:16], -v[13:14]
.LBB1_63:
	v_mul_f64 v[39:40], v[15:16], v[15:16]
	v_fma_f64 v[41:42], v[15:16], v[15:16], v[13:14]
	v_div_scale_f64 v[45:46], s[2:3], v[15:16], v[15:16], 1.0
	v_add_f64 v[39:40], v[39:40], v[39:40]
	v_div_scale_f64 v[43:44], s[2:3], v[41:42], v[41:42], v[39:40]
	v_rcp_f64_e32 v[49:50], v[45:46]
	v_div_scale_f64 v[55:56], s[2:3], 1.0, v[15:16], 1.0
	v_rcp_f64_e32 v[47:48], v[43:44]
	v_fma_f64 v[53:54], -v[45:46], v[49:50], 1.0
	v_fma_f64 v[49:50], v[49:50], v[53:54], v[49:50]
	v_fma_f64 v[51:52], -v[43:44], v[47:48], 1.0
	v_fma_f64 v[57:58], -v[45:46], v[49:50], 1.0
	v_fma_f64 v[47:48], v[47:48], v[51:52], v[47:48]
	v_div_scale_f64 v[51:52], vcc, v[39:40], v[41:42], v[39:40]
	v_fma_f64 v[49:50], v[49:50], v[57:58], v[49:50]
	v_fma_f64 v[53:54], -v[43:44], v[47:48], 1.0
	v_mul_f64 v[57:58], v[55:56], v[49:50]
	v_fma_f64 v[47:48], v[47:48], v[53:54], v[47:48]
	v_fma_f64 v[45:46], -v[45:46], v[57:58], v[55:56]
	v_mul_f64 v[53:54], v[51:52], v[47:48]
	v_fma_f64 v[43:44], -v[43:44], v[53:54], v[51:52]
	v_div_fmas_f64 v[43:44], v[43:44], v[47:48], v[53:54]
	s_mov_b64 vcc, s[2:3]
	v_div_fmas_f64 v[45:46], v[45:46], v[49:50], v[57:58]
	v_div_fixup_f64 v[41:42], v[43:44], v[41:42], v[39:40]
	v_div_fixup_f64 v[39:40], v[45:46], v[15:16], 1.0
.LBB1_64:
	v_mul_f64 v[43:44], v[7:8], v[7:8]
	s_waitcnt lgkmcnt(3)
	v_fma_f64 v[5:6], -v[5:6], v[35:36], v[9:10]
	v_mul_f64 v[9:10], v[33:34], v[31:32]
	v_fma_f64 v[11:12], -v[35:36], v[35:36], v[11:12]
	s_mov_b32 s2, 0
	s_mov_b32 s3, 0xc0080000
	v_add_f64 v[17:18], v[17:18], s[2:3]
	s_mov_b32 s2, 0x812dea11
	s_mov_b32 s3, 0x3d719799
	v_fma_f64 v[5:6], -v[7:8], v[43:44], v[5:6]
	v_fma_f64 v[7:8], v[35:36], v[29:30], v[9:10]
	v_mul_f64 v[29:30], v[39:40], v[41:42]
	v_mov_b32_e32 v1, 0x848
	v_fma_f64 v[9:10], -v[23:24], v[27:28], v[5:6]
	v_add_f64 v[33:34], v[43:44], -v[7:8]
	s_waitcnt lgkmcnt(2)
	v_fma_f64 v[23:24], -v[25:26], v[25:26], v[23:24]
	v_mul_f64 v[13:14], v[13:14], v[29:30]
	v_fma_f64 v[9:10], -v[19:20], v[7:8], v[9:10]
	v_add_f64 v[19:20], v[19:20], -v[25:26]
	v_fma_f64 v[9:10], v[7:8], v[37:38], v[9:10]
	v_mul_f64 v[37:38], v[25:26], v[25:26]
	v_mul_f64 v[31:32], v[9:10], v[29:30]
	v_fma_f64 v[5:6], -v[25:26], v[37:38], v[5:6]
	v_mul_f64 v[9:10], v[39:40], v[31:32]
	v_fma_f64 v[35:36], v[33:34], v[29:30], v[9:10]
	v_fma_f64 v[9:10], -v[43:44], v[43:44], v[11:12]
	v_fma_f64 v[11:12], v[27:28], v[35:36], -v[7:8]
	v_fma_f64 v[7:8], -v[37:38], v[37:38], v[9:10]
	v_add_f64 v[9:10], v[35:36], v[35:36]
	v_add_f64 v[27:28], v[11:12], v[11:12]
	v_fma_f64 v[5:6], -v[5:6], v[9:10], v[7:8]
	v_mul_f64 v[9:10], v[9:10], v[11:12]
	v_fma_f64 v[7:8], v[35:36], v[35:36], v[27:28]
	v_fma_f64 v[5:6], v[23:24], v[7:8], v[5:6]
	v_mul_f64 v[7:8], v[17:18], v[11:12]
	v_add_f64 v[17:18], -v[41:42], 1.0
	v_fma_f64 v[5:6], -v[19:20], v[9:10], v[5:6]
	v_fma_f64 v[39:40], v[21:22], v[17:18], -v[13:14]
	v_fma_f64 v[31:32], v[33:34], v[17:18], -v[31:32]
	v_fma_f64 v[9:10], v[11:12], v[7:8], v[5:6]
	v_fma_f64 v[5:6], -v[25:26], v[35:36], v[37:38]
	ds_write2_b64 v1, v[39:40], v[31:32] offset1:1
	v_cmp_lt_f64_e64 s[2:3], |v[9:10]|, s[2:3]
	v_add_f64 v[11:12], v[5:6], v[11:12]
	v_mov_b32_e32 v5, 0
	v_mov_b32_e32 v6, 0
	s_and_b64 vcc, exec, s[2:3]
	s_cbranch_vccnz .LBB1_70
; %bb.65:
	v_fma_f64 v[5:6], v[11:12], v[11:12], v[9:10]
	s_mov_b32 s2, 0
	s_brev_b32 s3, 8
	v_mov_b32_e32 v1, 0x260
	s_mov_b64 s[4:5], 0
	v_cmp_gt_f64_e32 vcc, s[2:3], v[5:6]
	s_and_b64 s[2:3], vcc, exec
	s_cselect_b32 s2, 0x100, 0
	v_ldexp_f64 v[5:6], v[5:6], s2
	s_cselect_b32 s2, 0xffffff80, 0
	v_cmp_nge_f64_e32 vcc, 0, v[11:12]
	v_rsq_f64_e32 v[13:14], v[5:6]
	s_and_b64 vcc, exec, vcc
	v_mul_f64 v[15:16], v[5:6], v[13:14]
	v_mul_f64 v[13:14], v[13:14], 0.5
	v_fma_f64 v[17:18], -v[13:14], v[15:16], 0.5
	v_fma_f64 v[15:16], v[15:16], v[17:18], v[15:16]
	v_fma_f64 v[13:14], v[13:14], v[17:18], v[13:14]
	v_fma_f64 v[17:18], -v[15:16], v[15:16], v[5:6]
	v_fma_f64 v[15:16], v[17:18], v[13:14], v[15:16]
	v_fma_f64 v[17:18], -v[15:16], v[15:16], v[5:6]
	v_fma_f64 v[13:14], v[17:18], v[13:14], v[15:16]
	v_ldexp_f64 v[13:14], v[13:14], s2
	v_cmp_class_f64_e64 s[2:3], v[5:6], v1
	v_cndmask_b32_e64 v6, v14, v6, s[2:3]
	v_cndmask_b32_e64 v5, v13, v5, s[2:3]
	s_cbranch_vccnz .LBB1_67
; %bb.66:
	v_add_f64 v[15:16], v[11:12], -v[5:6]
	s_andn2_b64 vcc, exec, s[4:5]
	s_cbranch_vccz .LBB1_68
	s_branch .LBB1_69
.LBB1_67:
                                        ; implicit-def: $vgpr15_vgpr16
.LBB1_68:
	v_add_f64 v[5:6], v[11:12], v[5:6]
	v_div_scale_f64 v[13:14], s[2:3], v[5:6], v[5:6], -v[9:10]
	v_div_scale_f64 v[19:20], vcc, -v[9:10], v[5:6], -v[9:10]
	v_rcp_f64_e32 v[15:16], v[13:14]
	v_fma_f64 v[17:18], -v[13:14], v[15:16], 1.0
	v_fma_f64 v[15:16], v[15:16], v[17:18], v[15:16]
	v_fma_f64 v[17:18], -v[13:14], v[15:16], 1.0
	v_fma_f64 v[15:16], v[15:16], v[17:18], v[15:16]
	v_mul_f64 v[17:18], v[19:20], v[15:16]
	v_fma_f64 v[13:14], -v[13:14], v[17:18], v[19:20]
	v_div_fmas_f64 v[13:14], v[13:14], v[15:16], v[17:18]
	v_div_fixup_f64 v[15:16], v[13:14], v[5:6], -v[9:10]
.LBB1_69:
	v_mul_f64 v[5:6], v[15:16], v[15:16]
	v_fma_f64 v[13:14], v[15:16], v[15:16], v[9:10]
	v_add_f64 v[5:6], v[5:6], v[5:6]
	v_div_scale_f64 v[17:18], s[2:3], v[13:14], v[13:14], v[5:6]
	v_div_scale_f64 v[23:24], vcc, v[5:6], v[13:14], v[5:6]
	v_rcp_f64_e32 v[19:20], v[17:18]
	v_fma_f64 v[21:22], -v[17:18], v[19:20], 1.0
	v_fma_f64 v[19:20], v[19:20], v[21:22], v[19:20]
	v_fma_f64 v[21:22], -v[17:18], v[19:20], 1.0
	v_fma_f64 v[19:20], v[19:20], v[21:22], v[19:20]
	v_mul_f64 v[21:22], v[23:24], v[19:20]
	v_fma_f64 v[17:18], -v[17:18], v[21:22], v[23:24]
	v_div_fmas_f64 v[17:18], v[17:18], v[19:20], v[21:22]
	v_div_fixup_f64 v[5:6], v[17:18], v[13:14], v[5:6]
.LBB1_70:
	buffer_load_dword v1, off, s[28:31], 0 offset:24 ; 4-byte Folded Reload
	buffer_load_dword v2, off, s[28:31], 0 offset:28 ; 4-byte Folded Reload
	buffer_load_dword v3, off, s[28:31], 0 offset:32 ; 4-byte Folded Reload
	buffer_load_dword v4, off, s[28:31], 0 offset:36 ; 4-byte Folded Reload
	buffer_load_dword v7, off, s[28:31], 0 offset:40 ; 4-byte Folded Reload
	buffer_load_dword v8, off, s[28:31], 0 offset:44 ; 4-byte Folded Reload
	v_mul_f64 v[13:14], v[39:40], v[31:32]
	s_mov_b32 s4, 0
	s_brev_b32 s5, 8
	buffer_store_dword v31, off, s[28:31], 0 offset:56 ; 4-byte Folded Spill
	s_nop 0
	buffer_store_dword v32, off, s[28:31], 0 offset:60 ; 4-byte Folded Spill
	buffer_store_dword v39, off, s[28:31], 0 offset:48 ; 4-byte Folded Spill
	s_nop 0
	buffer_store_dword v40, off, s[28:31], 0 offset:52 ; 4-byte Folded Spill
	v_mov_b32_e32 v63, 0x260
	s_mov_b32 s16, 0x812dea11
	s_mov_b32 s17, 0x3d719799
	;; [unrolled: 1-line block ×3, first 2 shown]
	s_waitcnt vmcnt(6)
	v_mul_f64 v[55:56], v[1:2], v[3:4]
	s_waitcnt vmcnt(4)
	v_mul_f64 v[35:36], v[1:2], v[7:8]
	v_fma_f64 v[37:38], v[3:4], v[7:8], v[13:14]
	v_mul_f64 v[17:18], v[55:56], v[55:56]
	v_fma_f64 v[13:14], v[35:36], v[35:36], v[17:18]
	v_div_scale_f64 v[17:18], s[2:3], v[15:16], v[15:16], v[5:6]
	v_fma_f64 v[13:14], v[37:38], v[37:38], v[13:14]
	v_add_f64 v[13:14], v[13:14], v[13:14]
	v_rcp_f64_e32 v[19:20], v[17:18]
	v_cmp_gt_f64_e32 vcc, s[4:5], v[13:14]
	s_and_b64 s[2:3], vcc, exec
	s_cselect_b32 s2, 0x100, 0
	v_ldexp_f64 v[13:14], v[13:14], s2
	v_fma_f64 v[21:22], -v[17:18], v[19:20], 1.0
	s_cselect_b32 s2, 0xffffff80, 0
	v_rsq_f64_e32 v[23:24], v[13:14]
	v_fma_f64 v[19:20], v[19:20], v[21:22], v[19:20]
	v_div_scale_f64 v[21:22], vcc, v[5:6], v[15:16], v[5:6]
	v_fma_f64 v[25:26], -v[17:18], v[19:20], 1.0
	v_mul_f64 v[27:28], v[13:14], v[23:24]
	v_mul_f64 v[23:24], v[23:24], 0.5
	v_fma_f64 v[19:20], v[19:20], v[25:26], v[19:20]
	v_fma_f64 v[25:26], -v[23:24], v[27:28], 0.5
	v_mul_f64 v[29:30], v[21:22], v[19:20]
	v_fma_f64 v[27:28], v[27:28], v[25:26], v[27:28]
	v_fma_f64 v[17:18], -v[17:18], v[29:30], v[21:22]
	v_fma_f64 v[21:22], v[23:24], v[25:26], v[23:24]
	v_mov_b32_e32 v25, 0
	v_mov_b32_e32 v26, 0x3ff00000
	v_fma_f64 v[23:24], -v[27:28], v[27:28], v[13:14]
	v_div_fmas_f64 v[17:18], v[17:18], v[19:20], v[29:30]
	v_cmp_class_f64_e32 vcc, v[13:14], v63
	v_mul_f64 v[29:30], v[1:2], v[1:2]
	v_mov_b32_e32 v1, 0
	v_fma_f64 v[19:20], v[23:24], v[21:22], v[27:28]
	v_fma_f64 v[23:24], -v[19:20], v[19:20], v[13:14]
	v_div_fixup_f64 v[15:16], v[17:18], v[15:16], v[5:6]
	v_add_f64 v[5:6], -v[5:6], 1.0
	v_fma_f64 v[17:18], v[23:24], v[21:22], v[19:20]
	v_mul_f64 v[19:20], v[31:32], v[31:32]
	v_mul_f64 v[9:10], v[9:10], v[15:16]
	v_mov_b32_e32 v21, 0
	v_mov_b32_e32 v22, 0
	v_ldexp_f64 v[15:16], v[17:18], s2
	v_fma_f64 v[19:20], v[7:8], v[7:8], v[19:20]
	v_fma_f64 v[7:8], v[11:12], v[5:6], -v[9:10]
	v_mul_f64 v[17:18], v[39:40], v[39:40]
	v_mov_b32_e32 v9, 0
	v_mov_b32_e32 v11, 0
	;; [unrolled: 1-line block ×4, first 2 shown]
	v_cndmask_b32_e32 v6, v16, v14, vcc
	v_cndmask_b32_e32 v5, v15, v13, vcc
	v_fma_f64 v[15:16], v[7:8], v[7:8], v[19:20]
	buffer_store_dword v7, off, s[28:31], 0 offset:64 ; 4-byte Folded Spill
	s_nop 0
	buffer_store_dword v8, off, s[28:31], 0 offset:68 ; 4-byte Folded Spill
	v_cmp_nle_f64_e32 vcc, s[16:17], v[5:6]
	v_fma_f64 v[49:50], v[3:4], v[3:4], v[17:18]
	ds_write_b64 v1, v[7:8] offset:2136
	s_cbranch_vccnz .LBB1_80
; %bb.71:
	v_mov_b32_e32 v1, 0
	v_mov_b32_e32 v2, 0
	buffer_store_dword v1, off, s[28:31], 0 offset:8 ; 4-byte Folded Spill
	s_nop 0
	buffer_store_dword v2, off, s[28:31], 0 offset:12 ; 4-byte Folded Spill
	v_mov_b32_e32 v27, 0
	v_mov_b32_e32 v1, 0
	;; [unrolled: 1-line block ×8, first 2 shown]
	s_mov_b32 s7, 0xbff00000
	s_mov_b32 s20, 0
	buffer_store_dword v1, off, s[28:31], 0 offset:16 ; 4-byte Folded Spill
	s_nop 0
	buffer_store_dword v2, off, s[28:31], 0 offset:20 ; 4-byte Folded Spill
.LBB1_72:                               ; =>This Inner Loop Header: Depth=1
	v_cmp_eq_f64_e32 vcc, 0, v[55:56]
	v_mov_b32_e32 v41, 0
	v_mov_b32_e32 v43, 0
	;; [unrolled: 1-line block ×4, first 2 shown]
	s_cbranch_vccnz .LBB1_74
; %bb.73:                               ;   in Loop: Header=BB1_72 Depth=1
	v_add_f64 v[5:6], v[49:50], -v[29:30]
	v_add_f64 v[13:14], v[55:56], v[55:56]
	v_div_scale_f64 v[39:40], s[2:3], v[13:14], v[13:14], v[5:6]
	v_rcp_f64_e32 v[41:42], v[39:40]
	v_fma_f64 v[43:44], -v[39:40], v[41:42], 1.0
	v_fma_f64 v[41:42], v[41:42], v[43:44], v[41:42]
	v_div_scale_f64 v[43:44], vcc, v[5:6], v[13:14], v[5:6]
	v_fma_f64 v[45:46], -v[39:40], v[41:42], 1.0
	v_fma_f64 v[41:42], v[41:42], v[45:46], v[41:42]
	v_mul_f64 v[45:46], v[43:44], v[41:42]
	v_fma_f64 v[39:40], -v[39:40], v[45:46], v[43:44]
	v_div_fmas_f64 v[39:40], v[39:40], v[41:42], v[45:46]
	v_div_fixup_f64 v[5:6], v[39:40], v[13:14], v[5:6]
	v_fma_f64 v[13:14], v[5:6], v[5:6], 1.0
	v_cmp_gt_f64_e32 vcc, 0, v[5:6]
	v_cmp_gt_f64_e64 s[2:3], s[4:5], v[13:14]
	s_and_b64 s[22:23], vcc, exec
	s_cselect_b32 s19, s7, 0x3ff00000
	s_and_b64 s[2:3], s[2:3], exec
	s_cselect_b32 s2, 0x100, 0
	v_ldexp_f64 v[13:14], v[13:14], s2
	s_cselect_b32 s2, 0xffffff80, 0
	v_rsq_f64_e32 v[39:40], v[13:14]
	v_cmp_class_f64_e32 vcc, v[13:14], v63
	v_mul_f64 v[41:42], v[13:14], v[39:40]
	v_mul_f64 v[39:40], v[39:40], 0.5
	v_fma_f64 v[43:44], -v[39:40], v[41:42], 0.5
	v_fma_f64 v[41:42], v[41:42], v[43:44], v[41:42]
	v_fma_f64 v[39:40], v[39:40], v[43:44], v[39:40]
	v_fma_f64 v[43:44], -v[41:42], v[41:42], v[13:14]
	v_fma_f64 v[41:42], v[43:44], v[39:40], v[41:42]
	v_fma_f64 v[43:44], -v[41:42], v[41:42], v[13:14]
	v_fma_f64 v[39:40], v[43:44], v[39:40], v[41:42]
	v_ldexp_f64 v[39:40], v[39:40], s2
	v_cndmask_b32_e32 v14, v40, v14, vcc
	v_cndmask_b32_e32 v13, v39, v13, vcc
	v_fma_f64 v[5:6], v[5:6], s[18:19], v[13:14]
	v_div_scale_f64 v[13:14], s[2:3], v[5:6], v[5:6], s[18:19]
	v_rcp_f64_e32 v[39:40], v[13:14]
	v_fma_f64 v[41:42], -v[13:14], v[39:40], 1.0
	v_fma_f64 v[39:40], v[39:40], v[41:42], v[39:40]
	v_div_scale_f64 v[41:42], vcc, s[18:19], v[5:6], s[18:19]
	v_fma_f64 v[43:44], -v[13:14], v[39:40], 1.0
	v_fma_f64 v[39:40], v[39:40], v[43:44], v[39:40]
	v_mul_f64 v[43:44], v[41:42], v[39:40]
	v_fma_f64 v[13:14], -v[13:14], v[43:44], v[41:42]
	v_div_fmas_f64 v[13:14], v[13:14], v[39:40], v[43:44]
	v_div_fixup_f64 v[5:6], v[13:14], v[5:6], s[18:19]
	v_fma_f64 v[13:14], v[5:6], v[5:6], 1.0
	v_cmp_gt_f64_e32 vcc, s[4:5], v[13:14]
	s_and_b64 s[2:3], vcc, exec
	s_cselect_b32 s2, 0x100, 0
	v_ldexp_f64 v[13:14], v[13:14], s2
	s_cselect_b32 s2, 0xffffff80, 0
	v_rsq_f64_e32 v[39:40], v[13:14]
	v_cmp_class_f64_e32 vcc, v[13:14], v63
	v_mul_f64 v[41:42], v[13:14], v[39:40]
	v_mul_f64 v[39:40], v[39:40], 0.5
	v_fma_f64 v[43:44], -v[39:40], v[41:42], 0.5
	v_fma_f64 v[41:42], v[41:42], v[43:44], v[41:42]
	v_fma_f64 v[39:40], v[39:40], v[43:44], v[39:40]
	v_fma_f64 v[43:44], -v[41:42], v[41:42], v[13:14]
	v_fma_f64 v[41:42], v[43:44], v[39:40], v[41:42]
	v_fma_f64 v[43:44], -v[41:42], v[41:42], v[13:14]
	v_fma_f64 v[39:40], v[43:44], v[39:40], v[41:42]
	v_ldexp_f64 v[39:40], v[39:40], s2
	v_cndmask_b32_e32 v14, v40, v14, vcc
	v_cndmask_b32_e32 v13, v39, v13, vcc
	v_div_scale_f64 v[39:40], s[2:3], v[13:14], v[13:14], 1.0
	v_div_scale_f64 v[45:46], vcc, 1.0, v[13:14], 1.0
	v_rcp_f64_e32 v[41:42], v[39:40]
	v_fma_f64 v[43:44], -v[39:40], v[41:42], 1.0
	v_fma_f64 v[41:42], v[41:42], v[43:44], v[41:42]
	v_fma_f64 v[43:44], -v[39:40], v[41:42], 1.0
	v_fma_f64 v[41:42], v[41:42], v[43:44], v[41:42]
	v_mul_f64 v[43:44], v[45:46], v[41:42]
	v_fma_f64 v[39:40], -v[39:40], v[43:44], v[45:46]
	v_div_fmas_f64 v[39:40], v[39:40], v[41:42], v[43:44]
	v_div_fixup_f64 v[43:44], v[39:40], v[13:14], 1.0
	v_mul_f64 v[41:42], v[5:6], v[43:44]
.LBB1_74:                               ;   in Loop: Header=BB1_72 Depth=1
	v_mul_f64 v[57:58], v[55:56], v[43:44]
	v_mul_f64 v[5:6], v[37:38], v[41:42]
	;; [unrolled: 1-line block ×3, first 2 shown]
	v_mov_b32_e32 v45, 0
	v_mov_b32_e32 v47, 0
	;; [unrolled: 1-line block ×5, first 2 shown]
	v_fma_f64 v[39:40], -v[49:50], v[41:42], v[57:58]
	v_fma_f64 v[13:14], v[35:36], v[43:44], -v[5:6]
	v_fma_f64 v[5:6], v[29:30], v[43:44], -v[55:56]
	v_mov_b32_e32 v48, 0x3ff00000
	v_mov_b32_e32 v52, 0
	v_mov_b32_e32 v54, 0x3ff00000
	v_mul_f64 v[39:40], v[41:42], v[39:40]
	v_cmp_eq_f64_e32 vcc, 0, v[13:14]
	v_fma_f64 v[39:40], v[43:44], v[5:6], -v[39:40]
	s_cbranch_vccnz .LBB1_76
; %bb.75:                               ;   in Loop: Header=BB1_72 Depth=1
	v_add_f64 v[5:6], v[15:16], -v[39:40]
	v_add_f64 v[51:52], v[13:14], v[13:14]
	v_div_scale_f64 v[53:54], s[2:3], v[51:52], v[51:52], v[5:6]
	v_rcp_f64_e32 v[59:60], v[53:54]
	v_fma_f64 v[61:62], -v[53:54], v[59:60], 1.0
	v_fma_f64 v[59:60], v[59:60], v[61:62], v[59:60]
	v_fma_f64 v[61:62], -v[53:54], v[59:60], 1.0
	v_fma_f64 v[59:60], v[59:60], v[61:62], v[59:60]
	v_div_scale_f64 v[61:62], vcc, v[5:6], v[51:52], v[5:6]
	v_mul_f64 v[7:8], v[61:62], v[59:60]
	v_fma_f64 v[53:54], -v[53:54], v[7:8], v[61:62]
	s_nop 1
	v_div_fmas_f64 v[7:8], v[53:54], v[59:60], v[7:8]
	v_div_fixup_f64 v[5:6], v[7:8], v[51:52], v[5:6]
	v_cmp_gt_f64_e32 vcc, 0, v[5:6]
	v_fma_f64 v[7:8], v[5:6], v[5:6], 1.0
	s_and_b64 s[2:3], vcc, exec
	v_cmp_gt_f64_e32 vcc, s[4:5], v[7:8]
	s_cselect_b32 s19, s7, 0x3ff00000
	s_and_b64 s[2:3], vcc, exec
	s_cselect_b32 s2, 0x100, 0
	v_ldexp_f64 v[7:8], v[7:8], s2
	s_cselect_b32 s2, 0xffffff80, 0
	v_rsq_f64_e32 v[51:52], v[7:8]
	v_cmp_class_f64_e32 vcc, v[7:8], v63
	v_mul_f64 v[53:54], v[7:8], v[51:52]
	v_mul_f64 v[51:52], v[51:52], 0.5
	v_fma_f64 v[59:60], -v[51:52], v[53:54], 0.5
	v_fma_f64 v[53:54], v[53:54], v[59:60], v[53:54]
	v_fma_f64 v[51:52], v[51:52], v[59:60], v[51:52]
	v_fma_f64 v[61:62], -v[53:54], v[53:54], v[7:8]
	v_fma_f64 v[53:54], v[61:62], v[51:52], v[53:54]
	v_fma_f64 v[59:60], -v[53:54], v[53:54], v[7:8]
	v_fma_f64 v[51:52], v[59:60], v[51:52], v[53:54]
	v_ldexp_f64 v[51:52], v[51:52], s2
	v_cndmask_b32_e32 v8, v52, v8, vcc
	v_cndmask_b32_e32 v7, v51, v7, vcc
	v_fma_f64 v[5:6], v[5:6], s[18:19], v[7:8]
	v_div_scale_f64 v[7:8], s[2:3], v[5:6], v[5:6], s[18:19]
	v_rcp_f64_e32 v[51:52], v[7:8]
	v_fma_f64 v[53:54], -v[7:8], v[51:52], 1.0
	v_fma_f64 v[51:52], v[51:52], v[53:54], v[51:52]
	v_fma_f64 v[53:54], -v[7:8], v[51:52], 1.0
	v_fma_f64 v[51:52], v[51:52], v[53:54], v[51:52]
	v_div_scale_f64 v[53:54], vcc, s[18:19], v[5:6], s[18:19]
	v_mul_f64 v[59:60], v[53:54], v[51:52]
	v_fma_f64 v[7:8], -v[7:8], v[59:60], v[53:54]
	s_nop 1
	v_div_fmas_f64 v[7:8], v[7:8], v[51:52], v[59:60]
	v_div_fixup_f64 v[5:6], v[7:8], v[5:6], s[18:19]
	v_fma_f64 v[7:8], v[5:6], v[5:6], 1.0
	v_cmp_gt_f64_e32 vcc, s[4:5], v[7:8]
	s_and_b64 s[2:3], vcc, exec
	s_cselect_b32 s2, 0x100, 0
	v_ldexp_f64 v[7:8], v[7:8], s2
	s_cselect_b32 s2, 0xffffff80, 0
	v_rsq_f64_e32 v[51:52], v[7:8]
	v_cmp_class_f64_e32 vcc, v[7:8], v63
	v_mul_f64 v[53:54], v[7:8], v[51:52]
	v_mul_f64 v[51:52], v[51:52], 0.5
	v_fma_f64 v[59:60], -v[51:52], v[53:54], 0.5
	v_fma_f64 v[53:54], v[53:54], v[59:60], v[53:54]
	v_fma_f64 v[51:52], v[51:52], v[59:60], v[51:52]
	v_fma_f64 v[61:62], -v[53:54], v[53:54], v[7:8]
	v_fma_f64 v[53:54], v[61:62], v[51:52], v[53:54]
	v_fma_f64 v[59:60], -v[53:54], v[53:54], v[7:8]
	v_fma_f64 v[51:52], v[59:60], v[51:52], v[53:54]
	v_ldexp_f64 v[51:52], v[51:52], s2
	v_cndmask_b32_e32 v8, v52, v8, vcc
	v_cndmask_b32_e32 v7, v51, v7, vcc
	v_div_scale_f64 v[51:52], s[2:3], v[7:8], v[7:8], 1.0
	v_rcp_f64_e32 v[53:54], v[51:52]
	v_fma_f64 v[59:60], -v[51:52], v[53:54], 1.0
	v_fma_f64 v[53:54], v[53:54], v[59:60], v[53:54]
	v_fma_f64 v[59:60], -v[51:52], v[53:54], 1.0
	v_fma_f64 v[53:54], v[53:54], v[59:60], v[53:54]
	v_div_scale_f64 v[59:60], vcc, 1.0, v[7:8], 1.0
	v_mul_f64 v[61:62], v[59:60], v[53:54]
	v_fma_f64 v[51:52], -v[51:52], v[61:62], v[59:60]
	s_nop 1
	v_div_fmas_f64 v[51:52], v[51:52], v[53:54], v[61:62]
	v_div_fixup_f64 v[53:54], v[51:52], v[7:8], 1.0
	v_mul_f64 v[51:52], v[5:6], v[53:54]
.LBB1_76:                               ;   in Loop: Header=BB1_72 Depth=1
	v_fma_f64 v[7:8], v[49:50], v[43:44], v[55:56]
	v_fma_f64 v[5:6], v[29:30], v[41:42], v[57:58]
	v_mul_f64 v[49:50], v[13:14], v[51:52]
	v_mul_f64 v[57:58], v[13:14], v[53:54]
	v_mov_b32_e32 v34, v12
	v_mov_b32_e32 v33, v11
	buffer_store_dword v9, off, s[28:31], 0 ; 4-byte Folded Spill
	s_nop 0
	buffer_store_dword v10, off, s[28:31], 0 offset:4 ; 4-byte Folded Spill
	v_mul_f64 v[29:30], v[41:42], v[7:8]
	v_mul_f64 v[7:8], v[43:44], v[7:8]
	v_fma_f64 v[13:14], v[15:16], v[53:54], v[49:50]
	v_fma_f64 v[61:62], v[39:40], v[51:52], v[57:58]
	v_fma_f64 v[55:56], v[43:44], v[5:6], -v[29:30]
	v_fma_f64 v[29:30], v[41:42], v[5:6], v[7:8]
	v_mul_f64 v[5:6], v[37:38], v[43:44]
	v_fma_f64 v[37:38], v[35:36], v[41:42], v[5:6]
	v_mul_f64 v[5:6], v[37:38], v[53:54]
	;; [unrolled: 2-line block ×3, first 2 shown]
	v_cmp_eq_f64_e32 vcc, 0, v[35:36]
	v_fma_f64 v[59:60], v[51:52], v[61:62], v[5:6]
	s_cbranch_vccnz .LBB1_78
; %bb.77:                               ;   in Loop: Header=BB1_72 Depth=1
	v_add_f64 v[5:6], v[59:60], -v[29:30]
	v_add_f64 v[7:8], v[35:36], v[35:36]
	v_div_scale_f64 v[45:46], s[2:3], v[7:8], v[7:8], v[5:6]
	v_rcp_f64_e32 v[47:48], v[45:46]
	v_fma_f64 v[9:10], -v[45:46], v[47:48], 1.0
	v_fma_f64 v[9:10], v[47:48], v[9:10], v[47:48]
	v_fma_f64 v[47:48], -v[45:46], v[9:10], 1.0
	v_fma_f64 v[9:10], v[9:10], v[47:48], v[9:10]
	v_div_scale_f64 v[47:48], vcc, v[5:6], v[7:8], v[5:6]
	v_mul_f64 v[1:2], v[47:48], v[9:10]
	v_fma_f64 v[3:4], -v[45:46], v[1:2], v[47:48]
	s_nop 1
	v_div_fmas_f64 v[1:2], v[3:4], v[9:10], v[1:2]
	v_div_fixup_f64 v[1:2], v[1:2], v[7:8], v[5:6]
	v_cmp_gt_f64_e32 vcc, 0, v[1:2]
	v_fma_f64 v[3:4], v[1:2], v[1:2], 1.0
	s_and_b64 s[2:3], vcc, exec
	v_cmp_gt_f64_e32 vcc, s[4:5], v[3:4]
	s_cselect_b32 s19, s7, 0x3ff00000
	s_and_b64 s[2:3], vcc, exec
	s_cselect_b32 s2, 0x100, 0
	v_ldexp_f64 v[3:4], v[3:4], s2
	s_cselect_b32 s2, 0xffffff80, 0
	v_rsq_f64_e32 v[5:6], v[3:4]
	v_cmp_class_f64_e32 vcc, v[3:4], v63
	v_mul_f64 v[7:8], v[3:4], v[5:6]
	v_mul_f64 v[5:6], v[5:6], 0.5
	v_fma_f64 v[9:10], -v[5:6], v[7:8], 0.5
	v_fma_f64 v[7:8], v[7:8], v[9:10], v[7:8]
	v_fma_f64 v[5:6], v[5:6], v[9:10], v[5:6]
	v_fma_f64 v[45:46], -v[7:8], v[7:8], v[3:4]
	v_fma_f64 v[7:8], v[45:46], v[5:6], v[7:8]
	v_fma_f64 v[9:10], -v[7:8], v[7:8], v[3:4]
	v_fma_f64 v[5:6], v[9:10], v[5:6], v[7:8]
	v_ldexp_f64 v[5:6], v[5:6], s2
	v_cndmask_b32_e32 v4, v6, v4, vcc
	v_cndmask_b32_e32 v3, v5, v3, vcc
	v_fma_f64 v[1:2], v[1:2], s[18:19], v[3:4]
	v_div_scale_f64 v[3:4], s[2:3], v[1:2], v[1:2], s[18:19]
	v_rcp_f64_e32 v[5:6], v[3:4]
	v_fma_f64 v[7:8], -v[3:4], v[5:6], 1.0
	v_fma_f64 v[5:6], v[5:6], v[7:8], v[5:6]
	v_fma_f64 v[7:8], -v[3:4], v[5:6], 1.0
	v_fma_f64 v[5:6], v[5:6], v[7:8], v[5:6]
	v_div_scale_f64 v[7:8], vcc, s[18:19], v[1:2], s[18:19]
	v_mul_f64 v[9:10], v[7:8], v[5:6]
	v_fma_f64 v[3:4], -v[3:4], v[9:10], v[7:8]
	s_nop 1
	v_div_fmas_f64 v[3:4], v[3:4], v[5:6], v[9:10]
	v_div_fixup_f64 v[1:2], v[3:4], v[1:2], s[18:19]
	v_fma_f64 v[3:4], v[1:2], v[1:2], 1.0
	v_cmp_gt_f64_e32 vcc, s[4:5], v[3:4]
	s_and_b64 s[2:3], vcc, exec
	s_cselect_b32 s2, 0x100, 0
	v_ldexp_f64 v[3:4], v[3:4], s2
	s_cselect_b32 s2, 0xffffff80, 0
	v_rsq_f64_e32 v[5:6], v[3:4]
	v_cmp_class_f64_e32 vcc, v[3:4], v63
	v_mul_f64 v[7:8], v[3:4], v[5:6]
	v_mul_f64 v[5:6], v[5:6], 0.5
	v_fma_f64 v[9:10], -v[5:6], v[7:8], 0.5
	v_fma_f64 v[7:8], v[7:8], v[9:10], v[7:8]
	v_fma_f64 v[5:6], v[5:6], v[9:10], v[5:6]
	v_fma_f64 v[45:46], -v[7:8], v[7:8], v[3:4]
	v_fma_f64 v[7:8], v[45:46], v[5:6], v[7:8]
	v_fma_f64 v[9:10], -v[7:8], v[7:8], v[3:4]
	v_fma_f64 v[5:6], v[9:10], v[5:6], v[7:8]
	v_ldexp_f64 v[5:6], v[5:6], s2
	v_cndmask_b32_e32 v4, v6, v4, vcc
	v_cndmask_b32_e32 v3, v5, v3, vcc
	v_div_scale_f64 v[5:6], s[2:3], v[3:4], v[3:4], 1.0
	v_rcp_f64_e32 v[7:8], v[5:6]
	v_fma_f64 v[9:10], -v[5:6], v[7:8], 1.0
	v_fma_f64 v[7:8], v[7:8], v[9:10], v[7:8]
	v_fma_f64 v[9:10], -v[5:6], v[7:8], 1.0
	v_fma_f64 v[7:8], v[7:8], v[9:10], v[7:8]
	v_div_scale_f64 v[9:10], vcc, 1.0, v[3:4], 1.0
	v_mul_f64 v[45:46], v[9:10], v[7:8]
	v_fma_f64 v[5:6], -v[5:6], v[45:46], v[9:10]
	s_nop 1
	v_div_fmas_f64 v[5:6], v[5:6], v[7:8], v[45:46]
	v_div_fixup_f64 v[47:48], v[5:6], v[3:4], 1.0
	v_mul_f64 v[45:46], v[1:2], v[47:48]
.LBB1_78:                               ;   in Loop: Header=BB1_72 Depth=1
	v_mul_f64 v[5:6], v[27:28], v[41:42]
	v_mul_f64 v[7:8], v[25:26], v[41:42]
	;; [unrolled: 1-line block ×8, first 2 shown]
	v_fma_f64 v[19:20], v[31:32], v[43:44], -v[5:6]
	v_mov_b32_e32 v5, v23
	v_fma_f64 v[27:28], v[23:24], v[43:44], -v[7:8]
	v_mov_b32_e32 v6, v24
	buffer_load_dword v23, off, s[28:31], 0 offset:16 ; 4-byte Folded Reload
	buffer_load_dword v24, off, s[28:31], 0 offset:20 ; 4-byte Folded Reload
	v_fma_f64 v[1:2], v[53:54], v[61:62], -v[1:2]
	v_mul_f64 v[61:62], v[35:36], v[45:46]
	v_fma_f64 v[3:4], v[55:56], v[53:54], -v[3:4]
	v_mul_f64 v[11:12], v[21:22], v[43:44]
	v_fma_f64 v[21:22], v[5:6], v[41:42], v[37:38]
	v_fma_f64 v[5:6], v[29:30], v[45:46], v[17:18]
	s_add_i32 s2, s20, 1
	v_fma_f64 v[13:14], v[31:32], v[41:42], v[13:14]
	v_mul_f64 v[55:56], v[1:2], v[45:46]
	v_fma_f64 v[7:8], v[59:60], v[47:48], v[61:62]
	v_mul_f64 v[1:2], v[1:2], v[47:48]
	v_fma_f64 v[17:18], -v[59:60], v[45:46], v[17:18]
	v_fma_f64 v[55:56], v[3:4], v[47:48], -v[55:56]
	v_fma_f64 v[35:36], v[3:4], v[45:46], v[1:2]
	v_mul_f64 v[1:2], v[55:56], v[55:56]
	v_fma_f64 v[1:2], v[35:36], v[35:36], v[1:2]
	s_waitcnt vmcnt(0)
	v_fma_f64 v[25:26], v[23:24], v[43:44], -v[9:10]
	v_mul_f64 v[9:10], v[45:46], v[7:8]
	v_mul_f64 v[7:8], v[47:48], v[7:8]
	v_fma_f64 v[37:38], v[47:48], v[5:6], -v[9:10]
	v_fma_f64 v[1:2], v[37:38], v[37:38], v[1:2]
	v_add_f64 v[1:2], v[1:2], v[1:2]
	v_cmp_gt_f64_e32 vcc, s[4:5], v[1:2]
	s_and_b64 s[22:23], vcc, exec
	s_cselect_b32 s3, 0x100, 0
	v_ldexp_f64 v[43:44], v[1:2], s3
	v_fma_f64 v[1:2], v[23:24], v[41:42], v[11:12]
	v_fma_f64 v[23:24], v[39:40], v[53:54], -v[49:50]
	buffer_load_dword v39, off, s[28:31], 0 offset:8 ; 4-byte Folded Reload
	buffer_load_dword v40, off, s[28:31], 0 offset:12 ; 4-byte Folded Reload
	v_fma_f64 v[11:12], -v[15:16], v[51:52], v[57:58]
	v_mul_f64 v[41:42], v[33:34], v[53:54]
	v_fma_f64 v[57:58], v[29:30], v[47:48], -v[61:62]
	s_cselect_b32 s3, 0xffffff80, 0
	v_rsq_f64_e32 v[3:4], v[43:44]
	v_cmp_class_f64_e32 vcc, v[43:44], v63
	s_cmp_lt_u32 s20, 15
	s_cselect_b64 s[20:21], -1, 0
	v_mul_f64 v[11:12], v[51:52], v[11:12]
	v_fma_f64 v[29:30], v[53:54], v[23:24], -v[11:12]
	v_mul_f64 v[11:12], v[45:46], v[17:18]
	v_mul_f64 v[9:10], v[43:44], v[3:4]
	v_mul_f64 v[3:4], v[3:4], 0.5
	v_fma_f64 v[15:16], -v[3:4], v[9:10], 0.5
	v_fma_f64 v[9:10], v[9:10], v[15:16], v[9:10]
	v_fma_f64 v[3:4], v[3:4], v[15:16], v[3:4]
	v_fma_f64 v[15:16], -v[9:10], v[9:10], v[43:44]
	v_fma_f64 v[9:10], v[15:16], v[3:4], v[9:10]
	v_fma_f64 v[59:60], -v[9:10], v[9:10], v[43:44]
	v_fma_f64 v[3:4], v[59:60], v[3:4], v[9:10]
	v_fma_f64 v[9:10], v[27:28], v[51:52], v[41:42]
	v_ldexp_f64 v[3:4], v[3:4], s3
	s_waitcnt vmcnt(0)
	v_mul_f64 v[31:32], v[39:40], v[51:52]
	v_mul_f64 v[15:16], v[39:40], v[53:54]
	;; [unrolled: 1-line block ×3, first 2 shown]
	buffer_load_dword v33, off, s[28:31], 0 ; 4-byte Folded Reload
	buffer_load_dword v34, off, s[28:31], 0 offset:4 ; 4-byte Folded Reload
	v_cndmask_b32_e32 v4, v4, v44, vcc
	v_cndmask_b32_e32 v3, v3, v43, vcc
	v_cmp_le_f64_e32 vcc, s[16:17], v[3:4]
	v_fma_f64 v[17:18], v[19:20], v[51:52], v[15:16]
	v_fma_f64 v[15:16], v[45:46], v[5:6], v[7:8]
	s_and_b64 s[20:21], vcc, s[20:21]
	v_mul_f64 v[5:6], v[17:18], v[45:46]
	v_mul_f64 v[7:8], v[17:18], v[47:48]
	s_andn2_b64 vcc, exec, s[20:21]
	s_waitcnt vmcnt(0)
	v_mul_f64 v[61:62], v[33:34], v[53:54]
	v_mul_f64 v[49:50], v[33:34], v[51:52]
	v_fma_f64 v[33:34], v[19:20], v[53:54], -v[31:32]
	v_fma_f64 v[31:32], v[27:28], v[53:54], -v[39:40]
	;; [unrolled: 1-line block ×3, first 2 shown]
	v_fma_f64 v[39:40], v[13:14], v[45:46], v[7:8]
	v_fma_f64 v[19:20], v[25:26], v[51:52], v[61:62]
	v_fma_f64 v[23:24], v[25:26], v[53:54], -v[49:50]
	v_fma_f64 v[49:50], v[47:48], v[57:58], -v[11:12]
	v_mul_f64 v[11:12], v[9:10], v[45:46]
	v_mul_f64 v[9:10], v[9:10], v[47:48]
	;; [unrolled: 1-line block ×4, first 2 shown]
	v_fma_f64 v[25:26], v[21:22], v[47:48], -v[11:12]
	v_fma_f64 v[11:12], v[21:22], v[45:46], v[9:10]
	v_fma_f64 v[21:22], v[1:2], v[47:48], -v[17:18]
	v_fma_f64 v[9:10], v[1:2], v[45:46], v[19:20]
	s_cbranch_vccnz .LBB1_81
; %bb.79:                               ;   in Loop: Header=BB1_72 Depth=1
	buffer_store_dword v39, off, s[28:31], 0 offset:8 ; 4-byte Folded Spill
	s_nop 0
	buffer_store_dword v40, off, s[28:31], 0 offset:12 ; 4-byte Folded Spill
	buffer_store_dword v23, off, s[28:31], 0 offset:16 ; 4-byte Folded Spill
	s_nop 0
	buffer_store_dword v24, off, s[28:31], 0 offset:20 ; 4-byte Folded Spill
	v_mov_b32_e32 v23, v31
	v_mov_b32_e32 v24, v32
	;; [unrolled: 1-line block ×3, first 2 shown]
	s_mov_b32 s20, s2
	v_mov_b32_e32 v32, v34
	s_branch .LBB1_72
.LBB1_80:
	v_mov_b32_e32 v39, 0
	v_mov_b32_e32 v27, 0
	;; [unrolled: 1-line block ×10, first 2 shown]
.LBB1_81:
	v_cmp_lt_f64_e32 vcc, v[29:30], v[49:50]
	s_cbranch_vccz .LBB1_83
; %bb.82:
	v_mov_b32_e32 v13, v27
	v_mov_b32_e32 v14, v28
	;; [unrolled: 1-line block ×8, first 2 shown]
	v_cmp_nlt_f64_e32 vcc, v[35:36], v[15:16]
	s_cbranch_vccz .LBB1_84
	s_branch .LBB1_85
.LBB1_83:
	v_mov_b32_e32 v13, v33
	v_mov_b32_e32 v14, v34
	;; [unrolled: 1-line block ×16, first 2 shown]
	v_cmp_nlt_f64_e32 vcc, v[35:36], v[15:16]
	s_cbranch_vccnz .LBB1_85
.LBB1_84:
	v_mov_b32_e32 v1, v35
	v_mov_b32_e32 v3, v25
	;; [unrolled: 1-line block ×24, first 2 shown]
.LBB1_85:
	v_cmp_nlt_f64_e32 vcc, v[29:30], v[15:16]
	s_cbranch_vccnz .LBB1_87
; %bb.86:
	v_mov_b32_e32 v5, v15
	v_mov_b32_e32 v6, v16
	;; [unrolled: 1-line block ×8, first 2 shown]
	s_branch .LBB1_88
.LBB1_87:
	v_mov_b32_e32 v5, v29
	v_mov_b32_e32 v6, v30
	;; [unrolled: 1-line block ×16, first 2 shown]
.LBB1_88:
	v_div_scale_f64 v[1:2], s[2:3], v[35:36], v[35:36], 1.0
	v_div_scale_f64 v[3:4], s[2:3], v[5:6], v[5:6], 1.0
	;; [unrolled: 1-line block ×3, first 2 shown]
	v_div_scale_f64 v[43:44], s[2:3], 1.0, v[5:6], 1.0
	v_rcp_f64_e32 v[9:10], v[1:2]
	v_rcp_f64_e32 v[11:12], v[3:4]
	v_rcp_f64_e32 v[17:18], v[7:8]
	v_fma_f64 v[37:38], -v[1:2], v[9:10], 1.0
	v_fma_f64 v[39:40], -v[3:4], v[11:12], 1.0
	v_fma_f64 v[9:10], v[9:10], v[37:38], v[9:10]
	v_div_scale_f64 v[37:38], vcc, 1.0, v[35:36], 1.0
	v_fma_f64 v[11:12], v[11:12], v[39:40], v[11:12]
	v_fma_f64 v[39:40], -v[7:8], v[17:18], 1.0
	v_fma_f64 v[41:42], -v[1:2], v[9:10], 1.0
	;; [unrolled: 1-line block ×3, first 2 shown]
	v_fma_f64 v[17:18], v[17:18], v[39:40], v[17:18]
	v_div_scale_f64 v[39:40], s[4:5], 1.0, v[29:30], 1.0
	v_fma_f64 v[9:10], v[9:10], v[41:42], v[9:10]
	v_fma_f64 v[11:12], v[11:12], v[45:46], v[11:12]
	v_fma_f64 v[41:42], -v[7:8], v[17:18], 1.0
	v_mul_f64 v[45:46], v[37:38], v[9:10]
	v_mul_f64 v[47:48], v[43:44], v[11:12]
	v_fma_f64 v[17:18], v[17:18], v[41:42], v[17:18]
	v_fma_f64 v[1:2], -v[1:2], v[45:46], v[37:38]
	v_fma_f64 v[3:4], -v[3:4], v[47:48], v[43:44]
	v_mul_f64 v[37:38], v[39:40], v[17:18]
	v_div_fmas_f64 v[1:2], v[1:2], v[9:10], v[45:46]
	s_mov_b64 vcc, s[2:3]
	v_div_fmas_f64 v[3:4], v[3:4], v[11:12], v[47:48]
	v_fma_f64 v[7:8], -v[7:8], v[37:38], v[39:40]
	s_mov_b64 vcc, s[4:5]
	s_mov_b32 s4, 0x812dea11
	s_mov_b32 s5, 0x3d719799
	v_cmp_nlt_f64_e64 s[2:3], |v[35:36]|, s[4:5]
	v_div_fmas_f64 v[7:8], v[7:8], v[17:18], v[37:38]
	v_cmp_nlt_f64_e64 vcc, |v[5:6]|, s[4:5]
	v_div_fixup_f64 v[1:2], v[1:2], v[35:36], 1.0
	v_div_fixup_f64 v[3:4], v[3:4], v[5:6], 1.0
	v_cndmask_b32_e64 v2, 0, v2, s[2:3]
	v_cndmask_b32_e64 v1, 0, v1, s[2:3]
	v_mul_f64 v[9:10], v[13:14], v[1:2]
	v_cndmask_b32_e32 v4, 0, v4, vcc
	v_cndmask_b32_e32 v3, 0, v3, vcc
	v_mul_f64 v[5:6], v[21:22], v[3:4]
	v_mul_f64 v[11:12], v[3:4], v[19:20]
	;; [unrolled: 1-line block ×3, first 2 shown]
	v_div_fixup_f64 v[7:8], v[7:8], v[29:30], 1.0
	v_cmp_nlt_f64_e64 vcc, |v[29:30]|, s[4:5]
	v_mul_f64 v[29:30], v[1:2], v[27:28]
	v_mul_f64 v[1:2], v[1:2], v[25:26]
	;; [unrolled: 1-line block ×8, first 2 shown]
	v_cndmask_b32_e32 v8, 0, v8, vcc
	v_cndmask_b32_e32 v7, 0, v7, vcc
	v_mul_f64 v[35:36], v[33:34], v[7:8]
	v_fma_f64 v[17:18], v[9:10], v[27:28], v[17:18]
	v_mul_f64 v[39:40], v[7:8], v[31:32]
	v_fma_f64 v[13:14], v[13:14], v[9:10], v[21:22]
	v_fma_f64 v[5:6], v[9:10], v[25:26], v[5:6]
	;; [unrolled: 1-line block ×3, first 2 shown]
	v_mul_f64 v[7:8], v[7:8], v[23:24]
	v_fma_f64 v[11:12], v[27:28], v[29:30], v[11:12]
	buffer_load_dword v27, off, s[28:31], 0 offset:24 ; 4-byte Folded Reload
	buffer_load_dword v28, off, s[28:31], 0 offset:28 ; 4-byte Folded Reload
	;; [unrolled: 1-line block ×4, first 2 shown]
	v_fma_f64 v[1:2], v[25:26], v[1:2], v[3:4]
	buffer_load_dword v19, off, s[28:31], 0 offset:56 ; 4-byte Folded Reload
	buffer_load_dword v20, off, s[28:31], 0 offset:60 ; 4-byte Folded Reload
	v_fma_f64 v[17:18], v[35:36], v[31:32], v[17:18]
	v_fma_f64 v[15:16], v[35:36], v[23:24], v[5:6]
	v_fma_f64 v[5:6], v[39:40], v[23:24], v[9:10]
	v_fma_f64 v[13:14], v[33:34], v[35:36], v[13:14]
	v_fma_f64 v[3:4], v[31:32], v[39:40], v[11:12]
	v_fma_f64 v[7:8], v[23:24], v[7:8], v[1:2]
	buffer_load_dword v23, off, s[28:31], 0 offset:64 ; 4-byte Folded Reload
	buffer_load_dword v24, off, s[28:31], 0 offset:68 ; 4-byte Folded Reload
	;; [unrolled: 1-line block ×4, first 2 shown]
	s_waitcnt vmcnt(6)
	v_mul_f64 v[9:10], v[29:30], v[17:18]
	s_waitcnt vmcnt(4)
	v_mul_f64 v[11:12], v[19:20], v[15:16]
	v_mul_f64 v[19:20], v[19:20], v[5:6]
	v_fma_f64 v[9:10], v[27:28], v[13:14], v[9:10]
	s_waitcnt vmcnt(2)
	v_mul_f64 v[1:2], v[23:24], v[15:16]
	s_waitcnt vmcnt(0)
	v_fma_f64 v[13:14], v[21:22], v[17:18], v[11:12]
	buffer_load_dword v11, off, s[28:31], 0 offset:40 ; 4-byte Folded Reload
	buffer_load_dword v12, off, s[28:31], 0 offset:44 ; 4-byte Folded Reload
	v_fma_f64 v[3:4], v[21:22], v[3:4], v[19:20]
	v_mul_f64 v[5:6], v[23:24], v[5:6]
	v_mul_f64 v[7:8], v[23:24], v[7:8]
	s_waitcnt vmcnt(0)
	v_fma_f64 v[11:12], v[11:12], v[15:16], v[9:10]
	v_mov_b32_e32 v9, 0
	ds_write_b128 v9, v[1:4] offset:2160
	ds_write_b128 v9, v[11:14] offset:2144
	;; [unrolled: 1-line block ×3, first 2 shown]
.LBB1_89:
	s_or_b64 exec, exec, s[14:15]
	s_waitcnt lgkmcnt(0)
	s_barrier
	s_and_saveexec_b64 s[2:3], s[0:1]
	s_cbranch_execz .LBB1_91
; %bb.90:
	v_lshl_or_b32 v1, s6, 4, v0
	v_lshlrev_b32_e32 v0, 3, v0
	v_mov_b32_e32 v2, 0
	ds_read_b64 v[3:4], v0 offset:2096
	v_lshlrev_b64 v[1:2], 3, v[1:2]
	v_mov_b32_e32 v5, s11
	v_add_co_u32_e32 v0, vcc, s10, v1
	v_addc_co_u32_e32 v1, vcc, v5, v2, vcc
	s_waitcnt lgkmcnt(0)
	global_store_dwordx2 v[0:1], v[3:4], off
.LBB1_91:
	s_or_b64 exec, exec, s[2:3]
	s_andn2_saveexec_b64 s[0:1], s[12:13]
	s_cbranch_execz .LBB1_30
.LBB1_92:
	s_mov_b32 s7, 0
	s_lshl_b64 s[0:1], s[6:7], 2
	s_add_u32 s0, s8, s0
	s_addc_u32 s1, s9, s1
	v_mov_b32_e32 v0, 0
	v_mov_b32_e32 v1, 1
	global_store_dword v0, v1, s[0:1]
	s_endpgm
	.section	.rodata,"a",@progbits
	.p2align	6, 0x0
	.amdhsa_kernel _Z18prepare_svd_kernelILi256E9PayoffPutEviiT0_PKdPiPd
		.amdhsa_group_segment_fixed_size 2192
		.amdhsa_private_segment_fixed_size 76
		.amdhsa_kernarg_size 40
		.amdhsa_user_sgpr_count 6
		.amdhsa_user_sgpr_private_segment_buffer 1
		.amdhsa_user_sgpr_dispatch_ptr 0
		.amdhsa_user_sgpr_queue_ptr 0
		.amdhsa_user_sgpr_kernarg_segment_ptr 1
		.amdhsa_user_sgpr_dispatch_id 0
		.amdhsa_user_sgpr_flat_scratch_init 0
		.amdhsa_user_sgpr_private_segment_size 0
		.amdhsa_uses_dynamic_stack 0
		.amdhsa_system_sgpr_private_segment_wavefront_offset 1
		.amdhsa_system_sgpr_workgroup_id_x 1
		.amdhsa_system_sgpr_workgroup_id_y 0
		.amdhsa_system_sgpr_workgroup_id_z 0
		.amdhsa_system_sgpr_workgroup_info 0
		.amdhsa_system_vgpr_workitem_id 0
		.amdhsa_next_free_vgpr 64
		.amdhsa_next_free_sgpr 32
		.amdhsa_reserve_vcc 1
		.amdhsa_reserve_flat_scratch 0
		.amdhsa_float_round_mode_32 0
		.amdhsa_float_round_mode_16_64 0
		.amdhsa_float_denorm_mode_32 3
		.amdhsa_float_denorm_mode_16_64 3
		.amdhsa_dx10_clamp 1
		.amdhsa_ieee_mode 1
		.amdhsa_fp16_overflow 0
		.amdhsa_exception_fp_ieee_invalid_op 0
		.amdhsa_exception_fp_denorm_src 0
		.amdhsa_exception_fp_ieee_div_zero 0
		.amdhsa_exception_fp_ieee_overflow 0
		.amdhsa_exception_fp_ieee_underflow 0
		.amdhsa_exception_fp_ieee_inexact 0
		.amdhsa_exception_int_div_zero 0
	.end_amdhsa_kernel
	.section	.text._Z18prepare_svd_kernelILi256E9PayoffPutEviiT0_PKdPiPd,"axG",@progbits,_Z18prepare_svd_kernelILi256E9PayoffPutEviiT0_PKdPiPd,comdat
.Lfunc_end1:
	.size	_Z18prepare_svd_kernelILi256E9PayoffPutEviiT0_PKdPiPd, .Lfunc_end1-_Z18prepare_svd_kernelILi256E9PayoffPutEviiT0_PKdPiPd
                                        ; -- End function
	.set _Z18prepare_svd_kernelILi256E9PayoffPutEviiT0_PKdPiPd.num_vgpr, 64
	.set _Z18prepare_svd_kernelILi256E9PayoffPutEviiT0_PKdPiPd.num_agpr, 0
	.set _Z18prepare_svd_kernelILi256E9PayoffPutEviiT0_PKdPiPd.numbered_sgpr, 32
	.set _Z18prepare_svd_kernelILi256E9PayoffPutEviiT0_PKdPiPd.num_named_barrier, 0
	.set _Z18prepare_svd_kernelILi256E9PayoffPutEviiT0_PKdPiPd.private_seg_size, 76
	.set _Z18prepare_svd_kernelILi256E9PayoffPutEviiT0_PKdPiPd.uses_vcc, 1
	.set _Z18prepare_svd_kernelILi256E9PayoffPutEviiT0_PKdPiPd.uses_flat_scratch, 0
	.set _Z18prepare_svd_kernelILi256E9PayoffPutEviiT0_PKdPiPd.has_dyn_sized_stack, 0
	.set _Z18prepare_svd_kernelILi256E9PayoffPutEviiT0_PKdPiPd.has_recursion, 0
	.set _Z18prepare_svd_kernelILi256E9PayoffPutEviiT0_PKdPiPd.has_indirect_call, 0
	.section	.AMDGPU.csdata,"",@progbits
; Kernel info:
; codeLenInByte = 8728
; TotalNumSgprs: 36
; NumVgprs: 64
; ScratchSize: 76
; MemoryBound: 0
; FloatMode: 240
; IeeeMode: 1
; LDSByteSize: 2192 bytes/workgroup (compile time only)
; SGPRBlocks: 4
; VGPRBlocks: 15
; NumSGPRsForWavesPerEU: 36
; NumVGPRsForWavesPerEU: 64
; Occupancy: 4
; WaveLimiterHint : 0
; COMPUTE_PGM_RSRC2:SCRATCH_EN: 1
; COMPUTE_PGM_RSRC2:USER_SGPR: 6
; COMPUTE_PGM_RSRC2:TRAP_HANDLER: 0
; COMPUTE_PGM_RSRC2:TGID_X_EN: 1
; COMPUTE_PGM_RSRC2:TGID_Y_EN: 0
; COMPUTE_PGM_RSRC2:TGID_Z_EN: 0
; COMPUTE_PGM_RSRC2:TIDIG_COMP_CNT: 0
	.section	.text._Z27compute_partial_beta_kernelILi128E9PayoffPutEviT0_PKdS3_S3_PKiPd,"axG",@progbits,_Z27compute_partial_beta_kernelILi128E9PayoffPutEviT0_PKdS3_S3_PKiPd,comdat
	.protected	_Z27compute_partial_beta_kernelILi128E9PayoffPutEviT0_PKdS3_S3_PKiPd ; -- Begin function _Z27compute_partial_beta_kernelILi128E9PayoffPutEviT0_PKdS3_S3_PKiPd
	.globl	_Z27compute_partial_beta_kernelILi128E9PayoffPutEviT0_PKdS3_S3_PKiPd
	.p2align	8
	.type	_Z27compute_partial_beta_kernelILi128E9PayoffPutEviT0_PKdS3_S3_PKiPd,@function
_Z27compute_partial_beta_kernelILi128E9PayoffPutEviT0_PKdS3_S3_PKiPd: ; @_Z27compute_partial_beta_kernelILi128E9PayoffPutEviT0_PKdS3_S3_PKiPd
; %bb.0:
	s_mov_b64 s[22:23], s[2:3]
	s_mov_b64 s[20:21], s[0:1]
	s_load_dwordx2 s[0:1], s[4:5], 0x28
	s_add_u32 s20, s20, s7
	s_addc_u32 s21, s21, 0
	s_waitcnt lgkmcnt(0)
	s_load_dword s0, s[0:1], 0x0
	s_waitcnt lgkmcnt(0)
	s_cmp_lg_u32 s0, 0
	s_cbranch_scc0 .LBB2_2
.LBB2_1:
	s_endpgm
.LBB2_2:
	v_cmp_gt_u32_e32 vcc, 12, v0
	s_and_saveexec_b64 s[0:1], vcc
	s_cbranch_execz .LBB2_4
; %bb.3:
	s_load_dwordx2 s[2:3], s[4:5], 0x10
	v_lshlrev_b32_e32 v3, 3, v0
	s_waitcnt lgkmcnt(0)
	global_load_dwordx2 v[1:2], v3, s[2:3]
	s_waitcnt vmcnt(0)
	ds_write_b64 v3, v[1:2]
.LBB2_4:
	s_or_b64 exec, exec, s[0:1]
	s_load_dwordx2 s[8:9], s[4:5], 0x30
	s_load_dword s7, s[4:5], 0x0
	v_lshl_or_b32 v17, s6, 7, v0
	v_mov_b32_e32 v15, 0
	v_mov_b32_e32 v29, 0
	;; [unrolled: 1-line block ×6, first 2 shown]
	s_waitcnt lgkmcnt(0)
	v_cmp_gt_i32_e32 vcc, s7, v17
	s_barrier
	s_and_saveexec_b64 s[10:11], vcc
	s_cbranch_execz .LBB2_10
; %bb.5:
	v_mov_b32_e32 v19, 0
	ds_read_b128 v[9:12], v19
	ds_read_b128 v[1:4], v19 offset:16
	v_ashrrev_i32_e32 v18, 31, v17
	s_mov_b64 s[12:13], 0
	s_waitcnt lgkmcnt(1)
	v_div_scale_f64 v[5:6], s[0:1], v[9:10], v[9:10], 1.0
	s_waitcnt lgkmcnt(0)
	v_div_scale_f64 v[7:8], s[0:1], v[3:4], v[3:4], 1.0
	v_div_scale_f64 v[24:25], s[0:1], 1.0, v[3:4], 1.0
	v_rcp_f64_e32 v[13:14], v[5:6]
	v_rcp_f64_e32 v[15:16], v[7:8]
	v_fma_f64 v[20:21], -v[5:6], v[13:14], 1.0
	v_fma_f64 v[22:23], -v[7:8], v[15:16], 1.0
	v_fma_f64 v[13:14], v[13:14], v[20:21], v[13:14]
	v_div_scale_f64 v[20:21], vcc, 1.0, v[9:10], 1.0
	v_fma_f64 v[15:16], v[15:16], v[22:23], v[15:16]
	v_fma_f64 v[22:23], -v[5:6], v[13:14], 1.0
	v_fma_f64 v[26:27], -v[7:8], v[15:16], 1.0
	v_fma_f64 v[13:14], v[13:14], v[22:23], v[13:14]
	v_fma_f64 v[22:23], v[15:16], v[26:27], v[15:16]
	v_mul_f64 v[15:16], v[20:21], v[13:14]
	v_mul_f64 v[26:27], v[24:25], v[22:23]
	v_fma_f64 v[5:6], -v[5:6], v[15:16], v[20:21]
	v_fma_f64 v[7:8], -v[7:8], v[26:27], v[24:25]
	v_div_fmas_f64 v[5:6], v[5:6], v[13:14], v[15:16]
	ds_read_b128 v[13:16], v19 offset:32
	ds_read_b128 v[28:31], v19 offset:48
	s_mov_b64 vcc, s[0:1]
	v_div_fmas_f64 v[7:8], v[7:8], v[22:23], v[26:27]
	s_waitcnt lgkmcnt(0)
	buffer_store_dword v28, off, s[20:23], 0 ; 4-byte Folded Spill
	s_nop 0
	buffer_store_dword v29, off, s[20:23], 0 offset:4 ; 4-byte Folded Spill
	buffer_store_dword v30, off, s[20:23], 0 offset:8 ; 4-byte Folded Spill
	;; [unrolled: 1-line block ×3, first 2 shown]
	v_div_scale_f64 v[20:21], s[0:1], v[15:16], v[15:16], 1.0
	v_cmp_neq_f64_e64 s[0:1], 0, v[3:4]
	v_cmp_neq_f64_e64 s[2:3], 0, v[15:16]
	v_mov_b32_e32 v29, 0
	v_mov_b32_e32 v30, 0
	v_div_fixup_f64 v[5:6], v[5:6], v[9:10], 1.0
	v_div_fixup_f64 v[7:8], v[7:8], v[3:4], 1.0
	v_rcp_f64_e32 v[22:23], v[20:21]
	v_cndmask_b32_e64 v8, 0, v8, s[0:1]
	v_cndmask_b32_e64 v7, 0, v7, s[0:1]
	buffer_store_dword v7, off, s[20:23], 0 offset:16 ; 4-byte Folded Spill
	s_nop 0
	buffer_store_dword v8, off, s[20:23], 0 offset:20 ; 4-byte Folded Spill
	v_fma_f64 v[24:25], -v[20:21], v[22:23], 1.0
	v_fma_f64 v[22:23], v[22:23], v[24:25], v[22:23]
	v_fma_f64 v[24:25], -v[20:21], v[22:23], 1.0
	v_fma_f64 v[22:23], v[22:23], v[24:25], v[22:23]
	v_div_scale_f64 v[24:25], vcc, 1.0, v[15:16], 1.0
	v_mul_f64 v[26:27], v[24:25], v[22:23]
	v_fma_f64 v[20:21], -v[20:21], v[26:27], v[24:25]
	s_nop 1
	v_div_fmas_f64 v[20:21], v[20:21], v[22:23], v[26:27]
	v_cmp_neq_f64_e32 vcc, 0, v[9:10]
	v_lshlrev_b64 v[27:28], 3, v[17:18]
	v_cndmask_b32_e32 v6, 0, v6, vcc
	v_cndmask_b32_e32 v5, 0, v5, vcc
	v_div_fixup_f64 v[3:4], v[20:21], v[15:16], 1.0
	v_mov_b32_e32 v15, 0
	v_mov_b32_e32 v16, 0
	v_cndmask_b32_e64 v10, 0, v4, s[2:3]
	v_cndmask_b32_e64 v9, 0, v3, s[2:3]
	v_mul_f64 v[3:4], v[5:6], v[7:8]
	s_load_dword s14, s[4:5], 0x38
	s_load_dwordx4 s[0:3], s[4:5], 0x18
	s_nop 0
	s_load_dwordx2 s[4:5], s[4:5], 0x8
	s_waitcnt lgkmcnt(0)
	s_lshl_b32 s14, s14, 7
	s_ashr_i32 s15, s14, 31
	s_lshl_b64 s[16:17], s[14:15], 3
	v_mul_f64 v[3:4], v[11:12], v[3:4]
	buffer_store_dword v3, off, s[20:23], 0 offset:32 ; 4-byte Folded Spill
	s_nop 0
	buffer_store_dword v4, off, s[20:23], 0 offset:36 ; 4-byte Folded Spill
	v_mul_f64 v[3:4], v[5:6], v[9:10]
	buffer_store_dword v9, off, s[20:23], 0 offset:24 ; 4-byte Folded Spill
	s_nop 0
	buffer_store_dword v10, off, s[20:23], 0 offset:28 ; 4-byte Folded Spill
	v_mul_f64 v[1:2], v[1:2], v[3:4]
	v_mul_f64 v[7:8], v[13:14], v[9:10]
	buffer_store_dword v7, off, s[20:23], 0 offset:40 ; 4-byte Folded Spill
	s_nop 0
	buffer_store_dword v8, off, s[20:23], 0 offset:44 ; 4-byte Folded Spill
	buffer_load_dword v7, off, s[20:23], 0  ; 4-byte Folded Reload
	s_nop 0
	buffer_load_dword v8, off, s[20:23], 0 offset:4 ; 4-byte Folded Reload
	buffer_load_dword v9, off, s[20:23], 0 offset:8 ; 4-byte Folded Reload
	;; [unrolled: 1-line block ×3, first 2 shown]
	s_waitcnt vmcnt(2)
	v_mul_f64 v[5:6], v[5:6], v[7:8]
	buffer_store_dword v5, off, s[20:23], 0 offset:80 ; 4-byte Folded Spill
	s_nop 0
	buffer_store_dword v6, off, s[20:23], 0 offset:84 ; 4-byte Folded Spill
	buffer_store_dword v1, off, s[20:23], 0 offset:88 ; 4-byte Folded Spill
	s_nop 0
	buffer_store_dword v2, off, s[20:23], 0 offset:92 ; 4-byte Folded Spill
	ds_read_b128 v[1:4], v19 offset:64
	s_waitcnt lgkmcnt(0)
	buffer_store_dword v1, off, s[20:23], 0 offset:48 ; 4-byte Folded Spill
	s_nop 0
	buffer_store_dword v2, off, s[20:23], 0 offset:52 ; 4-byte Folded Spill
	buffer_store_dword v3, off, s[20:23], 0 offset:56 ; 4-byte Folded Spill
	;; [unrolled: 1-line block ×3, first 2 shown]
	ds_read_b128 v[1:4], v19 offset:80
	v_mov_b32_e32 v5, 0
	v_mov_b32_e32 v6, 0
	s_waitcnt lgkmcnt(0)
	buffer_store_dword v1, off, s[20:23], 0 offset:64 ; 4-byte Folded Spill
	s_nop 0
	buffer_store_dword v2, off, s[20:23], 0 offset:68 ; 4-byte Folded Spill
	buffer_store_dword v3, off, s[20:23], 0 offset:72 ; 4-byte Folded Spill
	;; [unrolled: 1-line block ×3, first 2 shown]
	s_branch .LBB2_7
.LBB2_6:                                ;   in Loop: Header=BB2_7 Depth=1
	s_or_b64 exec, exec, s[18:19]
	buffer_load_dword v1, off, s[20:23], 0 offset:24 ; 4-byte Folded Reload
	buffer_load_dword v2, off, s[20:23], 0 offset:28 ; 4-byte Folded Reload
	v_add_co_u32_e32 v27, vcc, s16, v27
	v_add_u32_e32 v17, s14, v17
	s_waitcnt vmcnt(0)
	v_mul_f64 v[22:23], v[1:2], v[20:21]
	buffer_load_dword v1, off, s[20:23], 0 offset:88 ; 4-byte Folded Reload
	buffer_load_dword v2, off, s[20:23], 0 offset:92 ; 4-byte Folded Reload
	s_waitcnt vmcnt(0)
	v_fma_f64 v[22:23], v[20:21], v[22:23], -v[1:2]
	buffer_load_dword v1, off, s[20:23], 0 offset:16 ; 4-byte Folded Reload
	buffer_load_dword v2, off, s[20:23], 0 offset:20 ; 4-byte Folded Reload
	;; [unrolled: 1-line block ×4, first 2 shown]
	s_waitcnt vmcnt(0)
	v_fma_f64 v[20:21], v[1:2], v[20:21], -v[3:4]
	buffer_load_dword v1, off, s[20:23], 0 offset:40 ; 4-byte Folded Reload
	buffer_load_dword v2, off, s[20:23], 0 offset:44 ; 4-byte Folded Reload
	;; [unrolled: 1-line block ×10, first 2 shown]
	s_waitcnt vmcnt(8)
	v_fma_f64 v[22:23], -v[1:2], v[20:21], v[22:23]
	buffer_load_dword v1, off, s[20:23], 0  ; 4-byte Folded Reload
	buffer_load_dword v2, off, s[20:23], 0 offset:4 ; 4-byte Folded Reload
	buffer_load_dword v3, off, s[20:23], 0 offset:8 ; 4-byte Folded Reload
	;; [unrolled: 1-line block ×5, first 2 shown]
	s_waitcnt vmcnt(12)
	v_mul_f64 v[24:25], v[11:12], v[22:23]
	s_waitcnt vmcnt(6)
	v_fma_f64 v[24:25], v[9:10], v[20:21], v[24:25]
	v_fma_f64 v[29:30], v[24:25], v[18:19], v[29:30]
	s_waitcnt vmcnt(0)
	v_fma_f64 v[20:21], v[3:4], v[20:21], v[1:2]
	v_fma_f64 v[20:21], v[7:8], v[22:23], v[20:21]
	;; [unrolled: 1-line block ×3, first 2 shown]
	v_mul_f64 v[20:21], v[13:14], v[22:23]
	v_fma_f64 v[5:6], v[20:21], v[18:19], v[5:6]
	v_mov_b32_e32 v18, s17
	v_addc_co_u32_e32 v28, vcc, v28, v18, vcc
	v_cmp_le_i32_e32 vcc, s7, v17
	s_or_b64 s[12:13], vcc, s[12:13]
	s_andn2_b64 exec, exec, s[12:13]
	s_cbranch_execz .LBB2_9
.LBB2_7:                                ; =>This Inner Loop Header: Depth=1
	v_mov_b32_e32 v19, s1
	v_add_co_u32_e32 v18, vcc, s0, v27
	v_addc_co_u32_e32 v19, vcc, v19, v28, vcc
	global_load_dwordx2 v[20:21], v[18:19], off
	v_mov_b32_e32 v18, 0
	v_mov_b32_e32 v19, 0
	s_waitcnt vmcnt(0)
	v_cmp_gt_f64_e32 vcc, s[4:5], v[20:21]
	s_and_saveexec_b64 s[18:19], vcc
	s_cbranch_execz .LBB2_6
; %bb.8:                                ;   in Loop: Header=BB2_7 Depth=1
	v_mov_b32_e32 v19, s3
	v_add_co_u32_e32 v18, vcc, s2, v27
	v_addc_co_u32_e32 v19, vcc, v19, v28, vcc
	global_load_dwordx2 v[18:19], v[18:19], off
	s_branch .LBB2_6
.LBB2_9:
	s_or_b64 exec, exec, s[12:13]
.LBB2_10:
	s_or_b64 exec, exec, s[10:11]
	v_cmp_eq_u32_e32 vcc, 0, v0
	s_and_saveexec_b64 s[0:1], vcc
	s_cbranch_execz .LBB2_12
; %bb.11:
	v_mov_b32_e32 v0, 0
	v_mov_b32_e32 v1, v0
	;; [unrolled: 1-line block ×4, first 2 shown]
	ds_write_b128 v0, v[0:3] offset:96
	ds_write_b64 v0, v[0:1] offset:112
.LBB2_12:
	s_or_b64 exec, exec, s[0:1]
	v_mov_b32_e32 v0, 0
	s_mov_b64 s[0:1], exec
	v_bfrev_b32_e32 v1, 1
	s_waitcnt lgkmcnt(0)
	s_barrier
.LBB2_13:                               ; =>This Inner Loop Header: Depth=1
	s_ff1_i32_b64 s4, s[0:1]
	v_readlane_b32 s3, v16, s4
	v_readlane_b32 s2, v15, s4
	v_add_f64 v[0:1], v[0:1], s[2:3]
	s_lshl_b64 s[2:3], 1, s4
	s_andn2_b64 s[0:1], s[0:1], s[2:3]
	s_cmp_lg_u64 s[0:1], 0
	s_cbranch_scc1 .LBB2_13
; %bb.14:
	v_mbcnt_lo_u32_b32 v2, exec_lo, 0
	v_mbcnt_hi_u32_b32 v2, exec_hi, v2
	v_cmp_eq_u32_e64 s[0:1], 0, v2
	s_and_saveexec_b64 s[2:3], s[0:1]
	s_xor_b64 s[2:3], exec, s[2:3]
	s_cbranch_execz .LBB2_18
; %bb.15:
	v_mov_b32_e32 v4, 0
	ds_read_b64 v[2:3], v4 offset:96
	s_mov_b64 s[4:5], 0
.LBB2_16:                               ; =>This Inner Loop Header: Depth=1
	s_waitcnt lgkmcnt(0)
	v_add_f64 v[7:8], v[2:3], v[0:1]
	ds_cmpst_rtn_b64 v[7:8], v4, v[2:3], v[7:8] offset:96
	s_waitcnt lgkmcnt(0)
	v_cmp_eq_u64_e64 s[0:1], v[7:8], v[2:3]
	v_mov_b32_e32 v2, v7
	s_or_b64 s[4:5], s[0:1], s[4:5]
	v_mov_b32_e32 v3, v8
	s_andn2_b64 exec, exec, s[4:5]
	s_cbranch_execnz .LBB2_16
; %bb.17:
	s_or_b64 exec, exec, s[4:5]
.LBB2_18:
	s_or_b64 exec, exec, s[2:3]
	v_mov_b32_e32 v0, 0
	s_mov_b64 s[0:1], exec
	v_bfrev_b32_e32 v1, 1
.LBB2_19:                               ; =>This Inner Loop Header: Depth=1
	s_ff1_i32_b64 s4, s[0:1]
	v_readlane_b32 s3, v30, s4
	v_readlane_b32 s2, v29, s4
	v_add_f64 v[0:1], v[0:1], s[2:3]
	s_lshl_b64 s[2:3], 1, s4
	s_andn2_b64 s[0:1], s[0:1], s[2:3]
	s_cmp_lg_u64 s[0:1], 0
	s_cbranch_scc1 .LBB2_19
; %bb.20:
	v_mbcnt_lo_u32_b32 v2, exec_lo, 0
	v_mbcnt_hi_u32_b32 v2, exec_hi, v2
	v_cmp_eq_u32_e64 s[0:1], 0, v2
	s_and_saveexec_b64 s[2:3], s[0:1]
	s_xor_b64 s[2:3], exec, s[2:3]
	s_cbranch_execz .LBB2_24
; %bb.21:
	v_mov_b32_e32 v4, 0
	ds_read_b64 v[2:3], v4 offset:104
	s_mov_b64 s[4:5], 0
.LBB2_22:                               ; =>This Inner Loop Header: Depth=1
	s_waitcnt lgkmcnt(0)
	v_add_f64 v[7:8], v[2:3], v[0:1]
	ds_cmpst_rtn_b64 v[7:8], v4, v[2:3], v[7:8] offset:104
	s_waitcnt lgkmcnt(0)
	v_cmp_eq_u64_e64 s[0:1], v[7:8], v[2:3]
	v_mov_b32_e32 v2, v7
	s_or_b64 s[4:5], s[0:1], s[4:5]
	v_mov_b32_e32 v3, v8
	s_andn2_b64 exec, exec, s[4:5]
	s_cbranch_execnz .LBB2_22
; %bb.23:
	s_or_b64 exec, exec, s[4:5]
.LBB2_24:
	s_or_b64 exec, exec, s[2:3]
	v_mov_b32_e32 v0, 0
	s_mov_b64 s[0:1], exec
	v_bfrev_b32_e32 v1, 1
.LBB2_25:                               ; =>This Inner Loop Header: Depth=1
	s_ff1_i32_b64 s4, s[0:1]
	v_readlane_b32 s3, v6, s4
	v_readlane_b32 s2, v5, s4
	v_add_f64 v[0:1], v[0:1], s[2:3]
	s_lshl_b64 s[2:3], 1, s4
	s_andn2_b64 s[0:1], s[0:1], s[2:3]
	s_cmp_lg_u64 s[0:1], 0
	s_cbranch_scc1 .LBB2_25
; %bb.26:
	v_mbcnt_lo_u32_b32 v2, exec_lo, 0
	v_mbcnt_hi_u32_b32 v2, exec_hi, v2
	v_cmp_eq_u32_e64 s[0:1], 0, v2
	s_and_saveexec_b64 s[2:3], s[0:1]
	s_xor_b64 s[2:3], exec, s[2:3]
	s_cbranch_execz .LBB2_30
; %bb.27:
	v_mov_b32_e32 v4, 0
	ds_read_b64 v[2:3], v4 offset:112
	s_mov_b64 s[4:5], 0
.LBB2_28:                               ; =>This Inner Loop Header: Depth=1
	s_waitcnt lgkmcnt(0)
	v_add_f64 v[5:6], v[2:3], v[0:1]
	ds_cmpst_rtn_b64 v[5:6], v4, v[2:3], v[5:6] offset:112
	s_waitcnt lgkmcnt(0)
	v_cmp_eq_u64_e64 s[0:1], v[5:6], v[2:3]
	v_mov_b32_e32 v2, v5
	s_or_b64 s[4:5], s[0:1], s[4:5]
	v_mov_b32_e32 v3, v6
	s_andn2_b64 exec, exec, s[4:5]
	s_cbranch_execnz .LBB2_28
; %bb.29:
	s_or_b64 exec, exec, s[4:5]
.LBB2_30:
	s_or_b64 exec, exec, s[2:3]
	s_barrier
	s_and_saveexec_b64 s[0:1], vcc
	s_cbranch_execz .LBB2_1
; %bb.31:
	v_mov_b32_e32 v6, 0
	ds_read_b128 v[0:3], v6 offset:96
	ds_read_b64 v[4:5], v6 offset:112
	s_mov_b32 s7, 0
	s_lshl_b64 s[0:1], s[6:7], 3
	s_add_u32 s0, s8, s0
	s_addc_u32 s1, s9, s1
	s_waitcnt lgkmcnt(1)
	global_store_dwordx2 v6, v[0:1], s[0:1]
	s_add_i32 s0, s6, 0x80
	s_mov_b32 s1, s7
	s_lshl_b64 s[0:1], s[0:1], 3
	s_add_u32 s0, s8, s0
	s_addc_u32 s1, s9, s1
	s_addk_i32 s6, 0x100
	global_store_dwordx2 v6, v[2:3], s[0:1]
	s_lshl_b64 s[0:1], s[6:7], 3
	s_add_u32 s0, s8, s0
	s_addc_u32 s1, s9, s1
	s_waitcnt lgkmcnt(0)
	global_store_dwordx2 v6, v[4:5], s[0:1]
	s_endpgm
	.section	.rodata,"a",@progbits
	.p2align	6, 0x0
	.amdhsa_kernel _Z27compute_partial_beta_kernelILi128E9PayoffPutEviT0_PKdS3_S3_PKiPd
		.amdhsa_group_segment_fixed_size 120
		.amdhsa_private_segment_fixed_size 100
		.amdhsa_kernarg_size 312
		.amdhsa_user_sgpr_count 6
		.amdhsa_user_sgpr_private_segment_buffer 1
		.amdhsa_user_sgpr_dispatch_ptr 0
		.amdhsa_user_sgpr_queue_ptr 0
		.amdhsa_user_sgpr_kernarg_segment_ptr 1
		.amdhsa_user_sgpr_dispatch_id 0
		.amdhsa_user_sgpr_flat_scratch_init 0
		.amdhsa_user_sgpr_private_segment_size 0
		.amdhsa_uses_dynamic_stack 0
		.amdhsa_system_sgpr_private_segment_wavefront_offset 1
		.amdhsa_system_sgpr_workgroup_id_x 1
		.amdhsa_system_sgpr_workgroup_id_y 0
		.amdhsa_system_sgpr_workgroup_id_z 0
		.amdhsa_system_sgpr_workgroup_info 0
		.amdhsa_system_vgpr_workitem_id 0
		.amdhsa_next_free_vgpr 32
		.amdhsa_next_free_sgpr 24
		.amdhsa_reserve_vcc 1
		.amdhsa_reserve_flat_scratch 0
		.amdhsa_float_round_mode_32 0
		.amdhsa_float_round_mode_16_64 0
		.amdhsa_float_denorm_mode_32 3
		.amdhsa_float_denorm_mode_16_64 3
		.amdhsa_dx10_clamp 1
		.amdhsa_ieee_mode 1
		.amdhsa_fp16_overflow 0
		.amdhsa_exception_fp_ieee_invalid_op 0
		.amdhsa_exception_fp_denorm_src 0
		.amdhsa_exception_fp_ieee_div_zero 0
		.amdhsa_exception_fp_ieee_overflow 0
		.amdhsa_exception_fp_ieee_underflow 0
		.amdhsa_exception_fp_ieee_inexact 0
		.amdhsa_exception_int_div_zero 0
	.end_amdhsa_kernel
	.section	.text._Z27compute_partial_beta_kernelILi128E9PayoffPutEviT0_PKdS3_S3_PKiPd,"axG",@progbits,_Z27compute_partial_beta_kernelILi128E9PayoffPutEviT0_PKdS3_S3_PKiPd,comdat
.Lfunc_end2:
	.size	_Z27compute_partial_beta_kernelILi128E9PayoffPutEviT0_PKdS3_S3_PKiPd, .Lfunc_end2-_Z27compute_partial_beta_kernelILi128E9PayoffPutEviT0_PKdS3_S3_PKiPd
                                        ; -- End function
	.set _Z27compute_partial_beta_kernelILi128E9PayoffPutEviT0_PKdS3_S3_PKiPd.num_vgpr, 32
	.set _Z27compute_partial_beta_kernelILi128E9PayoffPutEviT0_PKdS3_S3_PKiPd.num_agpr, 0
	.set _Z27compute_partial_beta_kernelILi128E9PayoffPutEviT0_PKdS3_S3_PKiPd.numbered_sgpr, 24
	.set _Z27compute_partial_beta_kernelILi128E9PayoffPutEviT0_PKdS3_S3_PKiPd.num_named_barrier, 0
	.set _Z27compute_partial_beta_kernelILi128E9PayoffPutEviT0_PKdS3_S3_PKiPd.private_seg_size, 100
	.set _Z27compute_partial_beta_kernelILi128E9PayoffPutEviT0_PKdS3_S3_PKiPd.uses_vcc, 1
	.set _Z27compute_partial_beta_kernelILi128E9PayoffPutEviT0_PKdS3_S3_PKiPd.uses_flat_scratch, 0
	.set _Z27compute_partial_beta_kernelILi128E9PayoffPutEviT0_PKdS3_S3_PKiPd.has_dyn_sized_stack, 0
	.set _Z27compute_partial_beta_kernelILi128E9PayoffPutEviT0_PKdS3_S3_PKiPd.has_recursion, 0
	.set _Z27compute_partial_beta_kernelILi128E9PayoffPutEviT0_PKdS3_S3_PKiPd.has_indirect_call, 0
	.section	.AMDGPU.csdata,"",@progbits
; Kernel info:
; codeLenInByte = 2080
; TotalNumSgprs: 28
; NumVgprs: 32
; ScratchSize: 100
; MemoryBound: 0
; FloatMode: 240
; IeeeMode: 1
; LDSByteSize: 120 bytes/workgroup (compile time only)
; SGPRBlocks: 3
; VGPRBlocks: 7
; NumSGPRsForWavesPerEU: 28
; NumVGPRsForWavesPerEU: 32
; Occupancy: 8
; WaveLimiterHint : 0
; COMPUTE_PGM_RSRC2:SCRATCH_EN: 1
; COMPUTE_PGM_RSRC2:USER_SGPR: 6
; COMPUTE_PGM_RSRC2:TRAP_HANDLER: 0
; COMPUTE_PGM_RSRC2:TGID_X_EN: 1
; COMPUTE_PGM_RSRC2:TGID_Y_EN: 0
; COMPUTE_PGM_RSRC2:TGID_Z_EN: 0
; COMPUTE_PGM_RSRC2:TIDIG_COMP_CNT: 0
	.section	.text._Z25compute_final_beta_kernelILi128EEvPKiPd,"axG",@progbits,_Z25compute_final_beta_kernelILi128EEvPKiPd,comdat
	.protected	_Z25compute_final_beta_kernelILi128EEvPKiPd ; -- Begin function _Z25compute_final_beta_kernelILi128EEvPKiPd
	.globl	_Z25compute_final_beta_kernelILi128EEvPKiPd
	.p2align	8
	.type	_Z25compute_final_beta_kernelILi128EEvPKiPd,@function
_Z25compute_final_beta_kernelILi128EEvPKiPd: ; @_Z25compute_final_beta_kernelILi128EEvPKiPd
; %bb.0:
	s_load_dwordx4 s[0:3], s[4:5], 0x0
	s_waitcnt lgkmcnt(0)
	s_load_dword s0, s[0:1], 0x0
	s_waitcnt lgkmcnt(0)
	s_cmp_eq_u32 s0, 0
	s_cbranch_scc1 .LBB3_5
; %bb.1:
	v_cmp_gt_u32_e32 vcc, 3, v0
	s_and_saveexec_b64 s[0:1], vcc
	s_cbranch_execz .LBB3_3
; %bb.2:
	v_mov_b32_e32 v1, 0
	v_lshlrev_b32_e32 v3, 3, v0
	v_mov_b32_e32 v2, v1
	global_store_dwordx2 v3, v[1:2], s[2:3]
.LBB3_3:
	s_or_b64 exec, exec, s[0:1]
	s_cbranch_execz .LBB3_6
.LBB3_4:
	s_endpgm
.LBB3_5:
.LBB3_6:
	v_lshlrev_b32_e32 v7, 3, v0
	global_load_dwordx2 v[5:6], v7, s[2:3]
	global_load_dwordx2 v[3:4], v7, s[2:3] offset:1024
	global_load_dwordx2 v[1:2], v7, s[2:3] offset:2048
	v_cmp_eq_u32_e32 vcc, 0, v0
	s_and_saveexec_b64 s[0:1], vcc
	s_cbranch_execz .LBB3_8
; %bb.7:
	v_mov_b32_e32 v7, 0
	v_mov_b32_e32 v8, v7
	;; [unrolled: 1-line block ×4, first 2 shown]
	ds_write_b128 v7, v[7:10]
	ds_write_b64 v7, v[7:8] offset:16
.LBB3_8:
	s_or_b64 exec, exec, s[0:1]
	v_mov_b32_e32 v7, 0
	s_mov_b64 s[0:1], exec
	v_bfrev_b32_e32 v8, 1
	s_waitcnt vmcnt(0) lgkmcnt(0)
	s_barrier
.LBB3_9:                                ; =>This Inner Loop Header: Depth=1
	s_ff1_i32_b64 s6, s[0:1]
	v_readlane_b32 s5, v6, s6
	v_readlane_b32 s4, v5, s6
	v_add_f64 v[7:8], v[7:8], s[4:5]
	s_lshl_b64 s[4:5], 1, s6
	s_andn2_b64 s[0:1], s[0:1], s[4:5]
	s_cmp_lg_u64 s[0:1], 0
	s_cbranch_scc1 .LBB3_9
; %bb.10:
	v_mbcnt_lo_u32_b32 v0, exec_lo, 0
	v_mbcnt_hi_u32_b32 v0, exec_hi, v0
	v_cmp_eq_u32_e64 s[0:1], 0, v0
	s_and_saveexec_b64 s[4:5], s[0:1]
	s_xor_b64 s[4:5], exec, s[4:5]
	s_cbranch_execz .LBB3_14
; %bb.11:
	v_mov_b32_e32 v0, 0
	ds_read_b64 v[5:6], v0
	s_mov_b64 s[6:7], 0
.LBB3_12:                               ; =>This Inner Loop Header: Depth=1
	s_waitcnt lgkmcnt(0)
	v_add_f64 v[9:10], v[5:6], v[7:8]
	ds_cmpst_rtn_b64 v[9:10], v0, v[5:6], v[9:10]
	s_waitcnt lgkmcnt(0)
	v_cmp_eq_u64_e64 s[0:1], v[9:10], v[5:6]
	v_mov_b32_e32 v5, v9
	s_or_b64 s[6:7], s[0:1], s[6:7]
	v_mov_b32_e32 v6, v10
	s_andn2_b64 exec, exec, s[6:7]
	s_cbranch_execnz .LBB3_12
; %bb.13:
	s_or_b64 exec, exec, s[6:7]
.LBB3_14:
	s_or_b64 exec, exec, s[4:5]
	v_mov_b32_e32 v5, 0
	s_mov_b64 s[0:1], exec
	v_bfrev_b32_e32 v6, 1
.LBB3_15:                               ; =>This Inner Loop Header: Depth=1
	s_ff1_i32_b64 s6, s[0:1]
	v_readlane_b32 s5, v4, s6
	v_readlane_b32 s4, v3, s6
	v_add_f64 v[5:6], v[5:6], s[4:5]
	s_lshl_b64 s[4:5], 1, s6
	s_andn2_b64 s[0:1], s[0:1], s[4:5]
	s_cmp_lg_u64 s[0:1], 0
	s_cbranch_scc1 .LBB3_15
; %bb.16:
	v_mbcnt_lo_u32_b32 v0, exec_lo, 0
	v_mbcnt_hi_u32_b32 v0, exec_hi, v0
	v_cmp_eq_u32_e64 s[0:1], 0, v0
	s_and_saveexec_b64 s[4:5], s[0:1]
	s_xor_b64 s[4:5], exec, s[4:5]
	s_cbranch_execz .LBB3_20
; %bb.17:
	v_mov_b32_e32 v0, 0
	ds_read_b64 v[3:4], v0 offset:8
	s_mov_b64 s[6:7], 0
.LBB3_18:                               ; =>This Inner Loop Header: Depth=1
	s_waitcnt lgkmcnt(0)
	v_add_f64 v[7:8], v[3:4], v[5:6]
	ds_cmpst_rtn_b64 v[7:8], v0, v[3:4], v[7:8] offset:8
	s_waitcnt lgkmcnt(0)
	v_cmp_eq_u64_e64 s[0:1], v[7:8], v[3:4]
	v_mov_b32_e32 v3, v7
	s_or_b64 s[6:7], s[0:1], s[6:7]
	v_mov_b32_e32 v4, v8
	s_andn2_b64 exec, exec, s[6:7]
	s_cbranch_execnz .LBB3_18
; %bb.19:
	s_or_b64 exec, exec, s[6:7]
.LBB3_20:
	s_or_b64 exec, exec, s[4:5]
	v_mov_b32_e32 v3, 0
	s_mov_b64 s[0:1], exec
	v_bfrev_b32_e32 v4, 1
.LBB3_21:                               ; =>This Inner Loop Header: Depth=1
	s_ff1_i32_b64 s6, s[0:1]
	v_readlane_b32 s5, v2, s6
	v_readlane_b32 s4, v1, s6
	v_add_f64 v[3:4], v[3:4], s[4:5]
	s_lshl_b64 s[4:5], 1, s6
	s_andn2_b64 s[0:1], s[0:1], s[4:5]
	s_cmp_lg_u64 s[0:1], 0
	s_cbranch_scc1 .LBB3_21
; %bb.22:
	v_mbcnt_lo_u32_b32 v0, exec_lo, 0
	v_mbcnt_hi_u32_b32 v0, exec_hi, v0
	v_cmp_eq_u32_e64 s[0:1], 0, v0
	s_and_saveexec_b64 s[4:5], s[0:1]
	s_xor_b64 s[4:5], exec, s[4:5]
	s_cbranch_execz .LBB3_26
; %bb.23:
	v_mov_b32_e32 v2, 0
	ds_read_b64 v[0:1], v2 offset:16
	s_mov_b64 s[6:7], 0
.LBB3_24:                               ; =>This Inner Loop Header: Depth=1
	s_waitcnt lgkmcnt(0)
	v_add_f64 v[5:6], v[0:1], v[3:4]
	ds_cmpst_rtn_b64 v[5:6], v2, v[0:1], v[5:6] offset:16
	s_waitcnt lgkmcnt(0)
	v_cmp_eq_u64_e64 s[0:1], v[5:6], v[0:1]
	v_mov_b32_e32 v0, v5
	s_or_b64 s[6:7], s[0:1], s[6:7]
	v_mov_b32_e32 v1, v6
	s_andn2_b64 exec, exec, s[6:7]
	s_cbranch_execnz .LBB3_24
; %bb.25:
	s_or_b64 exec, exec, s[6:7]
.LBB3_26:
	s_or_b64 exec, exec, s[4:5]
	s_barrier
	s_and_saveexec_b64 s[0:1], vcc
	s_cbranch_execz .LBB3_4
; %bb.27:
	v_mov_b32_e32 v6, 0
	ds_read_b128 v[0:3], v6
	ds_read_b64 v[4:5], v6 offset:16
	s_waitcnt lgkmcnt(1)
	global_store_dwordx4 v6, v[0:3], s[2:3]
	s_waitcnt lgkmcnt(0)
	global_store_dwordx2 v6, v[4:5], s[2:3] offset:16
	s_endpgm
	.section	.rodata,"a",@progbits
	.p2align	6, 0x0
	.amdhsa_kernel _Z25compute_final_beta_kernelILi128EEvPKiPd
		.amdhsa_group_segment_fixed_size 24
		.amdhsa_private_segment_fixed_size 0
		.amdhsa_kernarg_size 16
		.amdhsa_user_sgpr_count 6
		.amdhsa_user_sgpr_private_segment_buffer 1
		.amdhsa_user_sgpr_dispatch_ptr 0
		.amdhsa_user_sgpr_queue_ptr 0
		.amdhsa_user_sgpr_kernarg_segment_ptr 1
		.amdhsa_user_sgpr_dispatch_id 0
		.amdhsa_user_sgpr_flat_scratch_init 0
		.amdhsa_user_sgpr_private_segment_size 0
		.amdhsa_uses_dynamic_stack 0
		.amdhsa_system_sgpr_private_segment_wavefront_offset 0
		.amdhsa_system_sgpr_workgroup_id_x 1
		.amdhsa_system_sgpr_workgroup_id_y 0
		.amdhsa_system_sgpr_workgroup_id_z 0
		.amdhsa_system_sgpr_workgroup_info 0
		.amdhsa_system_vgpr_workitem_id 0
		.amdhsa_next_free_vgpr 11
		.amdhsa_next_free_sgpr 8
		.amdhsa_reserve_vcc 1
		.amdhsa_reserve_flat_scratch 0
		.amdhsa_float_round_mode_32 0
		.amdhsa_float_round_mode_16_64 0
		.amdhsa_float_denorm_mode_32 3
		.amdhsa_float_denorm_mode_16_64 3
		.amdhsa_dx10_clamp 1
		.amdhsa_ieee_mode 1
		.amdhsa_fp16_overflow 0
		.amdhsa_exception_fp_ieee_invalid_op 0
		.amdhsa_exception_fp_denorm_src 0
		.amdhsa_exception_fp_ieee_div_zero 0
		.amdhsa_exception_fp_ieee_overflow 0
		.amdhsa_exception_fp_ieee_underflow 0
		.amdhsa_exception_fp_ieee_inexact 0
		.amdhsa_exception_int_div_zero 0
	.end_amdhsa_kernel
	.section	.text._Z25compute_final_beta_kernelILi128EEvPKiPd,"axG",@progbits,_Z25compute_final_beta_kernelILi128EEvPKiPd,comdat
.Lfunc_end3:
	.size	_Z25compute_final_beta_kernelILi128EEvPKiPd, .Lfunc_end3-_Z25compute_final_beta_kernelILi128EEvPKiPd
                                        ; -- End function
	.set _Z25compute_final_beta_kernelILi128EEvPKiPd.num_vgpr, 11
	.set _Z25compute_final_beta_kernelILi128EEvPKiPd.num_agpr, 0
	.set _Z25compute_final_beta_kernelILi128EEvPKiPd.numbered_sgpr, 8
	.set _Z25compute_final_beta_kernelILi128EEvPKiPd.num_named_barrier, 0
	.set _Z25compute_final_beta_kernelILi128EEvPKiPd.private_seg_size, 0
	.set _Z25compute_final_beta_kernelILi128EEvPKiPd.uses_vcc, 1
	.set _Z25compute_final_beta_kernelILi128EEvPKiPd.uses_flat_scratch, 0
	.set _Z25compute_final_beta_kernelILi128EEvPKiPd.has_dyn_sized_stack, 0
	.set _Z25compute_final_beta_kernelILi128EEvPKiPd.has_recursion, 0
	.set _Z25compute_final_beta_kernelILi128EEvPKiPd.has_indirect_call, 0
	.section	.AMDGPU.csdata,"",@progbits
; Kernel info:
; codeLenInByte = 724
; TotalNumSgprs: 12
; NumVgprs: 11
; ScratchSize: 0
; MemoryBound: 0
; FloatMode: 240
; IeeeMode: 1
; LDSByteSize: 24 bytes/workgroup (compile time only)
; SGPRBlocks: 1
; VGPRBlocks: 2
; NumSGPRsForWavesPerEU: 12
; NumVGPRsForWavesPerEU: 11
; Occupancy: 10
; WaveLimiterHint : 1
; COMPUTE_PGM_RSRC2:SCRATCH_EN: 0
; COMPUTE_PGM_RSRC2:USER_SGPR: 6
; COMPUTE_PGM_RSRC2:TRAP_HANDLER: 0
; COMPUTE_PGM_RSRC2:TGID_X_EN: 1
; COMPUTE_PGM_RSRC2:TGID_Y_EN: 0
; COMPUTE_PGM_RSRC2:TGID_Z_EN: 0
; COMPUTE_PGM_RSRC2:TIDIG_COMP_CNT: 0
	.section	.text._Z22update_cashflow_kernelILi128E9PayoffPutEviT0_dPKdS3_PKiPd,"axG",@progbits,_Z22update_cashflow_kernelILi128E9PayoffPutEviT0_dPKdS3_PKiPd,comdat
	.protected	_Z22update_cashflow_kernelILi128E9PayoffPutEviT0_dPKdS3_PKiPd ; -- Begin function _Z22update_cashflow_kernelILi128E9PayoffPutEviT0_dPKdS3_PKiPd
	.globl	_Z22update_cashflow_kernelILi128E9PayoffPutEviT0_dPKdS3_PKiPd
	.p2align	8
	.type	_Z22update_cashflow_kernelILi128E9PayoffPutEviT0_dPKdS3_PKiPd,@function
_Z22update_cashflow_kernelILi128E9PayoffPutEviT0_dPKdS3_PKiPd: ; @_Z22update_cashflow_kernelILi128E9PayoffPutEviT0_dPKdS3_PKiPd
; %bb.0:
	s_load_dword s28, s[4:5], 0x0
	v_lshl_or_b32 v0, s6, 7, v0
	s_waitcnt lgkmcnt(0)
	v_cmp_gt_i32_e32 vcc, s28, v0
	s_and_saveexec_b64 s[0:1], vcc
	s_cbranch_execz .LBB4_9
; %bb.1:
	s_load_dwordx4 s[0:3], s[4:5], 0x28
	s_load_dword s6, s[4:5], 0x38
	s_load_dwordx8 s[8:15], s[4:5], 0x8
	v_ashrrev_i32_e32 v1, 31, v0
	v_lshlrev_b64 v[1:2], 3, v[0:1]
	s_waitcnt lgkmcnt(0)
	s_load_dword s0, s[0:1], 0x0
	s_lshl_b32 s16, s6, 7
	s_load_dwordx4 s[4:7], s[12:13], 0x0
	s_load_dwordx2 s[18:19], s[12:13], 0x10
	s_mov_b32 s22, 0xe2308c3a
	s_mov_b64 s[20:21], 0
	s_waitcnt lgkmcnt(0)
	s_cmp_eq_u32 s0, 0
	s_cselect_b64 s[0:1], -1, 0
	s_ashr_i32 s17, s16, 31
	s_lshl_b64 s[12:13], s[16:17], 3
	v_cndmask_b32_e64 v3, 0, 1, s[0:1]
	v_mov_b32_e32 v11, s3
	v_cmp_ne_u32_e64 s[0:1], 1, v3
	s_mov_b32 s23, 0x3e45798e
	v_mov_b32_e32 v12, s13
	s_branch .LBB4_4
.LBB4_2:                                ;   in Loop: Header=BB4_4 Depth=1
	s_or_b64 exec, exec, s[26:27]
	v_mov_b32_e32 v5, v7
	v_mov_b32_e32 v6, v8
.LBB4_3:                                ;   in Loop: Header=BB4_4 Depth=1
	v_add_u32_e32 v0, s16, v0
	v_cmp_le_i32_e32 vcc, s28, v0
	s_or_b64 s[20:21], vcc, s[20:21]
	v_add_co_u32_e32 v1, vcc, s12, v1
	v_addc_co_u32_e32 v2, vcc, v2, v12, vcc
	global_store_dwordx2 v[3:4], v[5:6], off
	s_andn2_b64 exec, exec, s[20:21]
	s_cbranch_execz .LBB4_9
.LBB4_4:                                ; =>This Inner Loop Header: Depth=1
	v_add_co_u32_e32 v3, vcc, s2, v1
	v_addc_co_u32_e32 v4, vcc, v11, v2, vcc
	global_load_dwordx2 v[5:6], v[3:4], off
	s_and_b64 vcc, exec, s[0:1]
	s_waitcnt vmcnt(0)
	v_mul_f64 v[5:6], s[10:11], v[5:6]
	s_cbranch_vccnz .LBB4_3
; %bb.5:                                ;   in Loop: Header=BB4_4 Depth=1
	v_mov_b32_e32 v8, s15
	v_add_co_u32_e32 v7, vcc, s14, v1
	v_addc_co_u32_e32 v8, vcc, v8, v2, vcc
	global_load_dwordx2 v[9:10], v[7:8], off
	s_waitcnt vmcnt(0)
	v_add_f64 v[7:8], s[8:9], -v[9:10]
	v_max_f64 v[7:8], v[7:8], 0
	v_cmp_ge_f64_e64 s[24:25], s[22:23], v[7:8]
	v_cmp_nge_f64_e32 vcc, s[22:23], v[7:8]
	s_and_saveexec_b64 s[26:27], vcc
	s_cbranch_execz .LBB4_7
; %bb.6:                                ;   in Loop: Header=BB4_4 Depth=1
	v_mov_b32_e32 v14, s5
	v_mov_b32_e32 v13, s4
	v_fma_f64 v[13:14], s[6:7], v[9:10], v[13:14]
	v_mul_f64 v[9:10], v[9:10], v[9:10]
	s_andn2_b64 s[24:25], s[24:25], exec
	v_fma_f64 v[9:10], s[18:19], v[9:10], v[13:14]
	v_mul_f64 v[9:10], s[10:11], v[9:10]
	v_cmp_le_f64_e32 vcc, v[7:8], v[9:10]
	s_and_b64 s[30:31], vcc, exec
	s_or_b64 s[24:25], s[24:25], s[30:31]
.LBB4_7:                                ;   in Loop: Header=BB4_4 Depth=1
	s_or_b64 exec, exec, s[26:27]
	s_and_saveexec_b64 s[26:27], s[24:25]
	s_cbranch_execz .LBB4_2
; %bb.8:                                ;   in Loop: Header=BB4_4 Depth=1
	v_mov_b32_e32 v8, v6
	v_mov_b32_e32 v7, v5
	s_branch .LBB4_2
.LBB4_9:
	s_endpgm
	.section	.rodata,"a",@progbits
	.p2align	6, 0x0
	.amdhsa_kernel _Z22update_cashflow_kernelILi128E9PayoffPutEviT0_dPKdS3_PKiPd
		.amdhsa_group_segment_fixed_size 0
		.amdhsa_private_segment_fixed_size 0
		.amdhsa_kernarg_size 312
		.amdhsa_user_sgpr_count 6
		.amdhsa_user_sgpr_private_segment_buffer 1
		.amdhsa_user_sgpr_dispatch_ptr 0
		.amdhsa_user_sgpr_queue_ptr 0
		.amdhsa_user_sgpr_kernarg_segment_ptr 1
		.amdhsa_user_sgpr_dispatch_id 0
		.amdhsa_user_sgpr_flat_scratch_init 0
		.amdhsa_user_sgpr_private_segment_size 0
		.amdhsa_uses_dynamic_stack 0
		.amdhsa_system_sgpr_private_segment_wavefront_offset 0
		.amdhsa_system_sgpr_workgroup_id_x 1
		.amdhsa_system_sgpr_workgroup_id_y 0
		.amdhsa_system_sgpr_workgroup_id_z 0
		.amdhsa_system_sgpr_workgroup_info 0
		.amdhsa_system_vgpr_workitem_id 0
		.amdhsa_next_free_vgpr 15
		.amdhsa_next_free_sgpr 32
		.amdhsa_reserve_vcc 1
		.amdhsa_reserve_flat_scratch 0
		.amdhsa_float_round_mode_32 0
		.amdhsa_float_round_mode_16_64 0
		.amdhsa_float_denorm_mode_32 3
		.amdhsa_float_denorm_mode_16_64 3
		.amdhsa_dx10_clamp 1
		.amdhsa_ieee_mode 1
		.amdhsa_fp16_overflow 0
		.amdhsa_exception_fp_ieee_invalid_op 0
		.amdhsa_exception_fp_denorm_src 0
		.amdhsa_exception_fp_ieee_div_zero 0
		.amdhsa_exception_fp_ieee_overflow 0
		.amdhsa_exception_fp_ieee_underflow 0
		.amdhsa_exception_fp_ieee_inexact 0
		.amdhsa_exception_int_div_zero 0
	.end_amdhsa_kernel
	.section	.text._Z22update_cashflow_kernelILi128E9PayoffPutEviT0_dPKdS3_PKiPd,"axG",@progbits,_Z22update_cashflow_kernelILi128E9PayoffPutEviT0_dPKdS3_PKiPd,comdat
.Lfunc_end4:
	.size	_Z22update_cashflow_kernelILi128E9PayoffPutEviT0_dPKdS3_PKiPd, .Lfunc_end4-_Z22update_cashflow_kernelILi128E9PayoffPutEviT0_dPKdS3_PKiPd
                                        ; -- End function
	.set _Z22update_cashflow_kernelILi128E9PayoffPutEviT0_dPKdS3_PKiPd.num_vgpr, 15
	.set _Z22update_cashflow_kernelILi128E9PayoffPutEviT0_dPKdS3_PKiPd.num_agpr, 0
	.set _Z22update_cashflow_kernelILi128E9PayoffPutEviT0_dPKdS3_PKiPd.numbered_sgpr, 32
	.set _Z22update_cashflow_kernelILi128E9PayoffPutEviT0_dPKdS3_PKiPd.num_named_barrier, 0
	.set _Z22update_cashflow_kernelILi128E9PayoffPutEviT0_dPKdS3_PKiPd.private_seg_size, 0
	.set _Z22update_cashflow_kernelILi128E9PayoffPutEviT0_dPKdS3_PKiPd.uses_vcc, 1
	.set _Z22update_cashflow_kernelILi128E9PayoffPutEviT0_dPKdS3_PKiPd.uses_flat_scratch, 0
	.set _Z22update_cashflow_kernelILi128E9PayoffPutEviT0_dPKdS3_PKiPd.has_dyn_sized_stack, 0
	.set _Z22update_cashflow_kernelILi128E9PayoffPutEviT0_dPKdS3_PKiPd.has_recursion, 0
	.set _Z22update_cashflow_kernelILi128E9PayoffPutEviT0_dPKdS3_PKiPd.has_indirect_call, 0
	.section	.AMDGPU.csdata,"",@progbits
; Kernel info:
; codeLenInByte = 396
; TotalNumSgprs: 36
; NumVgprs: 15
; ScratchSize: 0
; MemoryBound: 0
; FloatMode: 240
; IeeeMode: 1
; LDSByteSize: 0 bytes/workgroup (compile time only)
; SGPRBlocks: 4
; VGPRBlocks: 3
; NumSGPRsForWavesPerEU: 36
; NumVGPRsForWavesPerEU: 15
; Occupancy: 10
; WaveLimiterHint : 0
; COMPUTE_PGM_RSRC2:SCRATCH_EN: 0
; COMPUTE_PGM_RSRC2:USER_SGPR: 6
; COMPUTE_PGM_RSRC2:TRAP_HANDLER: 0
; COMPUTE_PGM_RSRC2:TGID_X_EN: 1
; COMPUTE_PGM_RSRC2:TGID_Y_EN: 0
; COMPUTE_PGM_RSRC2:TGID_Z_EN: 0
; COMPUTE_PGM_RSRC2:TIDIG_COMP_CNT: 0
	.section	.text._Z27compute_partial_sums_kernelILi128EEviPKdPd,"axG",@progbits,_Z27compute_partial_sums_kernelILi128EEviPKdPd,comdat
	.protected	_Z27compute_partial_sums_kernelILi128EEviPKdPd ; -- Begin function _Z27compute_partial_sums_kernelILi128EEviPKdPd
	.globl	_Z27compute_partial_sums_kernelILi128EEviPKdPd
	.p2align	8
	.type	_Z27compute_partial_sums_kernelILi128EEviPKdPd,@function
_Z27compute_partial_sums_kernelILi128EEviPKdPd: ; @_Z27compute_partial_sums_kernelILi128EEviPKdPd
; %bb.0:
	s_load_dword s0, s[4:5], 0x0
	v_lshl_or_b32 v3, s6, 7, v0
	v_mov_b32_e32 v1, 0
	v_mov_b32_e32 v2, 0
	s_waitcnt lgkmcnt(0)
	v_cmp_gt_i32_e32 vcc, s0, v3
	s_and_saveexec_b64 s[0:1], vcc
	s_cbranch_execz .LBB5_2
; %bb.1:
	s_load_dwordx2 s[2:3], s[4:5], 0x8
	v_ashrrev_i32_e32 v4, 31, v3
	v_lshlrev_b64 v[1:2], 3, v[3:4]
	s_waitcnt lgkmcnt(0)
	v_mov_b32_e32 v3, s3
	v_add_co_u32_e32 v1, vcc, s2, v1
	v_addc_co_u32_e32 v2, vcc, v3, v2, vcc
	global_load_dwordx2 v[1:2], v[1:2], off
.LBB5_2:
	s_or_b64 exec, exec, s[0:1]
	s_load_dwordx2 s[2:3], s[4:5], 0x10
	v_cmp_eq_u32_e32 vcc, 0, v0
	s_and_saveexec_b64 s[0:1], vcc
; %bb.3:
	v_mov_b32_e32 v3, 0
	v_mov_b32_e32 v4, v3
	ds_write_b64 v3, v[3:4]
; %bb.4:
	s_or_b64 exec, exec, s[0:1]
	v_mov_b32_e32 v3, 0
	s_mov_b64 s[0:1], exec
	v_bfrev_b32_e32 v4, 1
	s_waitcnt vmcnt(0) lgkmcnt(0)
	s_barrier
.LBB5_5:                                ; =>This Inner Loop Header: Depth=1
	s_ff1_i32_b64 s7, s[0:1]
	v_readlane_b32 s5, v2, s7
	v_readlane_b32 s4, v1, s7
	v_add_f64 v[3:4], v[3:4], s[4:5]
	s_lshl_b64 s[4:5], 1, s7
	s_andn2_b64 s[0:1], s[0:1], s[4:5]
	s_cmp_lg_u64 s[0:1], 0
	s_cbranch_scc1 .LBB5_5
; %bb.6:
	v_mbcnt_lo_u32_b32 v0, exec_lo, 0
	v_mbcnt_hi_u32_b32 v0, exec_hi, v0
	v_cmp_eq_u32_e64 s[0:1], 0, v0
	s_and_saveexec_b64 s[4:5], s[0:1]
	s_xor_b64 s[4:5], exec, s[4:5]
	s_cbranch_execz .LBB5_10
; %bb.7:
	v_mov_b32_e32 v2, 0
	ds_read_b64 v[0:1], v2
	s_mov_b64 s[8:9], 0
.LBB5_8:                                ; =>This Inner Loop Header: Depth=1
	s_waitcnt lgkmcnt(0)
	v_add_f64 v[5:6], v[0:1], v[3:4]
	ds_cmpst_rtn_b64 v[5:6], v2, v[0:1], v[5:6]
	s_waitcnt lgkmcnt(0)
	v_cmp_eq_u64_e64 s[0:1], v[5:6], v[0:1]
	v_mov_b32_e32 v0, v5
	s_or_b64 s[8:9], s[0:1], s[8:9]
	v_mov_b32_e32 v1, v6
	s_andn2_b64 exec, exec, s[8:9]
	s_cbranch_execnz .LBB5_8
; %bb.9:
	s_or_b64 exec, exec, s[8:9]
.LBB5_10:
	s_or_b64 exec, exec, s[4:5]
	s_barrier
	s_and_saveexec_b64 s[0:1], vcc
	s_cbranch_execz .LBB5_12
; %bb.11:
	v_mov_b32_e32 v2, 0
	ds_read_b64 v[0:1], v2
	s_mov_b32 s7, 0
	s_lshl_b64 s[0:1], s[6:7], 3
	s_add_u32 s0, s2, s0
	s_addc_u32 s1, s3, s1
	s_waitcnt lgkmcnt(0)
	global_store_dwordx2 v2, v[0:1], s[0:1]
.LBB5_12:
	s_endpgm
	.section	.rodata,"a",@progbits
	.p2align	6, 0x0
	.amdhsa_kernel _Z27compute_partial_sums_kernelILi128EEviPKdPd
		.amdhsa_group_segment_fixed_size 8
		.amdhsa_private_segment_fixed_size 0
		.amdhsa_kernarg_size 24
		.amdhsa_user_sgpr_count 6
		.amdhsa_user_sgpr_private_segment_buffer 1
		.amdhsa_user_sgpr_dispatch_ptr 0
		.amdhsa_user_sgpr_queue_ptr 0
		.amdhsa_user_sgpr_kernarg_segment_ptr 1
		.amdhsa_user_sgpr_dispatch_id 0
		.amdhsa_user_sgpr_flat_scratch_init 0
		.amdhsa_user_sgpr_private_segment_size 0
		.amdhsa_uses_dynamic_stack 0
		.amdhsa_system_sgpr_private_segment_wavefront_offset 0
		.amdhsa_system_sgpr_workgroup_id_x 1
		.amdhsa_system_sgpr_workgroup_id_y 0
		.amdhsa_system_sgpr_workgroup_id_z 0
		.amdhsa_system_sgpr_workgroup_info 0
		.amdhsa_system_vgpr_workitem_id 0
		.amdhsa_next_free_vgpr 7
		.amdhsa_next_free_sgpr 10
		.amdhsa_reserve_vcc 1
		.amdhsa_reserve_flat_scratch 0
		.amdhsa_float_round_mode_32 0
		.amdhsa_float_round_mode_16_64 0
		.amdhsa_float_denorm_mode_32 3
		.amdhsa_float_denorm_mode_16_64 3
		.amdhsa_dx10_clamp 1
		.amdhsa_ieee_mode 1
		.amdhsa_fp16_overflow 0
		.amdhsa_exception_fp_ieee_invalid_op 0
		.amdhsa_exception_fp_denorm_src 0
		.amdhsa_exception_fp_ieee_div_zero 0
		.amdhsa_exception_fp_ieee_overflow 0
		.amdhsa_exception_fp_ieee_underflow 0
		.amdhsa_exception_fp_ieee_inexact 0
		.amdhsa_exception_int_div_zero 0
	.end_amdhsa_kernel
	.section	.text._Z27compute_partial_sums_kernelILi128EEviPKdPd,"axG",@progbits,_Z27compute_partial_sums_kernelILi128EEviPKdPd,comdat
.Lfunc_end5:
	.size	_Z27compute_partial_sums_kernelILi128EEviPKdPd, .Lfunc_end5-_Z27compute_partial_sums_kernelILi128EEviPKdPd
                                        ; -- End function
	.set _Z27compute_partial_sums_kernelILi128EEviPKdPd.num_vgpr, 7
	.set _Z27compute_partial_sums_kernelILi128EEviPKdPd.num_agpr, 0
	.set _Z27compute_partial_sums_kernelILi128EEviPKdPd.numbered_sgpr, 10
	.set _Z27compute_partial_sums_kernelILi128EEviPKdPd.num_named_barrier, 0
	.set _Z27compute_partial_sums_kernelILi128EEviPKdPd.private_seg_size, 0
	.set _Z27compute_partial_sums_kernelILi128EEviPKdPd.uses_vcc, 1
	.set _Z27compute_partial_sums_kernelILi128EEviPKdPd.uses_flat_scratch, 0
	.set _Z27compute_partial_sums_kernelILi128EEviPKdPd.has_dyn_sized_stack, 0
	.set _Z27compute_partial_sums_kernelILi128EEviPKdPd.has_recursion, 0
	.set _Z27compute_partial_sums_kernelILi128EEviPKdPd.has_indirect_call, 0
	.section	.AMDGPU.csdata,"",@progbits
; Kernel info:
; codeLenInByte = 356
; TotalNumSgprs: 14
; NumVgprs: 7
; ScratchSize: 0
; MemoryBound: 0
; FloatMode: 240
; IeeeMode: 1
; LDSByteSize: 8 bytes/workgroup (compile time only)
; SGPRBlocks: 1
; VGPRBlocks: 1
; NumSGPRsForWavesPerEU: 14
; NumVGPRsForWavesPerEU: 7
; Occupancy: 10
; WaveLimiterHint : 0
; COMPUTE_PGM_RSRC2:SCRATCH_EN: 0
; COMPUTE_PGM_RSRC2:USER_SGPR: 6
; COMPUTE_PGM_RSRC2:TRAP_HANDLER: 0
; COMPUTE_PGM_RSRC2:TGID_X_EN: 1
; COMPUTE_PGM_RSRC2:TGID_Y_EN: 0
; COMPUTE_PGM_RSRC2:TGID_Z_EN: 0
; COMPUTE_PGM_RSRC2:TIDIG_COMP_CNT: 0
	.section	.text._Z24compute_final_sum_kernelILi128EEviidPd,"axG",@progbits,_Z24compute_final_sum_kernelILi128EEviidPd,comdat
	.protected	_Z24compute_final_sum_kernelILi128EEviidPd ; -- Begin function _Z24compute_final_sum_kernelILi128EEviidPd
	.globl	_Z24compute_final_sum_kernelILi128EEviidPd
	.p2align	8
	.type	_Z24compute_final_sum_kernelILi128EEviidPd,@function
_Z24compute_final_sum_kernelILi128EEviidPd: ; @_Z24compute_final_sum_kernelILi128EEviidPd
; %bb.0:
	s_load_dwordx2 s[6:7], s[4:5], 0x0
	s_load_dwordx2 s[2:3], s[4:5], 0x10
	v_mov_b32_e32 v1, 0
	v_mov_b32_e32 v2, 0
	s_waitcnt lgkmcnt(0)
	v_cmp_gt_i32_e32 vcc, s7, v0
	s_and_saveexec_b64 s[8:9], vcc
	s_cbranch_execz .LBB6_4
; %bb.1:
	v_lshlrev_b32_e32 v1, 3, v0
	v_mov_b32_e32 v2, s3
	v_add_co_u32_e32 v3, vcc, s2, v1
	v_addc_co_u32_e32 v4, vcc, 0, v2, vcc
	v_mov_b32_e32 v1, 0
	v_mov_b32_e32 v2, 0
	s_mov_b64 s[10:11], 0
	v_mov_b32_e32 v5, v0
.LBB6_2:                                ; =>This Inner Loop Header: Depth=1
	global_load_dwordx2 v[6:7], v[3:4], off
	v_add_u32_e32 v5, 0x80, v5
	v_add_co_u32_e32 v3, vcc, 0x400, v3
	v_cmp_le_i32_e64 s[0:1], s7, v5
	s_or_b64 s[10:11], s[0:1], s[10:11]
	v_addc_co_u32_e32 v4, vcc, 0, v4, vcc
	s_waitcnt vmcnt(0)
	v_add_f64 v[1:2], v[1:2], v[6:7]
	s_andn2_b64 exec, exec, s[10:11]
	s_cbranch_execnz .LBB6_2
; %bb.3:
	s_or_b64 exec, exec, s[10:11]
.LBB6_4:
	s_or_b64 exec, exec, s[8:9]
	v_cmp_eq_u32_e32 vcc, 0, v0
	s_and_saveexec_b64 s[0:1], vcc
; %bb.5:
	v_mov_b32_e32 v3, 0
	v_mov_b32_e32 v4, v3
	ds_write_b64 v3, v[3:4]
; %bb.6:
	s_or_b64 exec, exec, s[0:1]
	v_mov_b32_e32 v3, 0
	s_mov_b64 s[0:1], exec
	v_bfrev_b32_e32 v4, 1
	s_waitcnt lgkmcnt(0)
	s_barrier
.LBB6_7:                                ; =>This Inner Loop Header: Depth=1
	s_ff1_i32_b64 s7, s[0:1]
	v_readlane_b32 s9, v2, s7
	v_readlane_b32 s8, v1, s7
	v_add_f64 v[3:4], v[3:4], s[8:9]
	s_lshl_b64 s[8:9], 1, s7
	s_andn2_b64 s[0:1], s[0:1], s[8:9]
	s_cmp_lg_u64 s[0:1], 0
	s_cbranch_scc1 .LBB6_7
; %bb.8:
	v_mbcnt_lo_u32_b32 v0, exec_lo, 0
	v_mbcnt_hi_u32_b32 v0, exec_hi, v0
	v_cmp_eq_u32_e64 s[0:1], 0, v0
	s_and_saveexec_b64 s[8:9], s[0:1]
	s_xor_b64 s[8:9], exec, s[8:9]
	s_cbranch_execz .LBB6_12
; %bb.9:
	v_mov_b32_e32 v2, 0
	ds_read_b64 v[0:1], v2
	s_mov_b64 s[10:11], 0
.LBB6_10:                               ; =>This Inner Loop Header: Depth=1
	s_waitcnt lgkmcnt(0)
	v_add_f64 v[5:6], v[0:1], v[3:4]
	ds_cmpst_rtn_b64 v[5:6], v2, v[0:1], v[5:6]
	s_waitcnt lgkmcnt(0)
	v_cmp_eq_u64_e64 s[0:1], v[5:6], v[0:1]
	v_mov_b32_e32 v0, v5
	s_or_b64 s[10:11], s[0:1], s[10:11]
	v_mov_b32_e32 v1, v6
	s_andn2_b64 exec, exec, s[10:11]
	s_cbranch_execnz .LBB6_10
; %bb.11:
	s_or_b64 exec, exec, s[10:11]
.LBB6_12:
	s_or_b64 exec, exec, s[8:9]
	s_barrier
	s_and_saveexec_b64 s[0:1], vcc
	s_cbranch_execz .LBB6_14
; %bb.13:
	v_mov_b32_e32 v12, 0
	s_load_dwordx2 s[0:1], s[4:5], 0x8
	ds_read_b64 v[0:1], v12
	v_cvt_f64_i32_e32 v[2:3], s6
	s_waitcnt lgkmcnt(0)
	v_mul_f64 v[0:1], s[0:1], v[0:1]
	v_div_scale_f64 v[4:5], s[0:1], v[2:3], v[2:3], v[0:1]
	v_div_scale_f64 v[10:11], vcc, v[0:1], v[2:3], v[0:1]
	v_rcp_f64_e32 v[6:7], v[4:5]
	v_fma_f64 v[8:9], -v[4:5], v[6:7], 1.0
	v_fma_f64 v[6:7], v[6:7], v[8:9], v[6:7]
	v_fma_f64 v[8:9], -v[4:5], v[6:7], 1.0
	v_fma_f64 v[6:7], v[6:7], v[8:9], v[6:7]
	v_mul_f64 v[8:9], v[10:11], v[6:7]
	v_fma_f64 v[4:5], -v[4:5], v[8:9], v[10:11]
	v_div_fmas_f64 v[4:5], v[4:5], v[6:7], v[8:9]
	v_div_fixup_f64 v[0:1], v[4:5], v[2:3], v[0:1]
	global_store_dwordx2 v12, v[0:1], s[2:3]
.LBB6_14:
	s_endpgm
	.section	.rodata,"a",@progbits
	.p2align	6, 0x0
	.amdhsa_kernel _Z24compute_final_sum_kernelILi128EEviidPd
		.amdhsa_group_segment_fixed_size 8
		.amdhsa_private_segment_fixed_size 0
		.amdhsa_kernarg_size 24
		.amdhsa_user_sgpr_count 6
		.amdhsa_user_sgpr_private_segment_buffer 1
		.amdhsa_user_sgpr_dispatch_ptr 0
		.amdhsa_user_sgpr_queue_ptr 0
		.amdhsa_user_sgpr_kernarg_segment_ptr 1
		.amdhsa_user_sgpr_dispatch_id 0
		.amdhsa_user_sgpr_flat_scratch_init 0
		.amdhsa_user_sgpr_private_segment_size 0
		.amdhsa_uses_dynamic_stack 0
		.amdhsa_system_sgpr_private_segment_wavefront_offset 0
		.amdhsa_system_sgpr_workgroup_id_x 1
		.amdhsa_system_sgpr_workgroup_id_y 0
		.amdhsa_system_sgpr_workgroup_id_z 0
		.amdhsa_system_sgpr_workgroup_info 0
		.amdhsa_system_vgpr_workitem_id 0
		.amdhsa_next_free_vgpr 13
		.amdhsa_next_free_sgpr 12
		.amdhsa_reserve_vcc 1
		.amdhsa_reserve_flat_scratch 0
		.amdhsa_float_round_mode_32 0
		.amdhsa_float_round_mode_16_64 0
		.amdhsa_float_denorm_mode_32 3
		.amdhsa_float_denorm_mode_16_64 3
		.amdhsa_dx10_clamp 1
		.amdhsa_ieee_mode 1
		.amdhsa_fp16_overflow 0
		.amdhsa_exception_fp_ieee_invalid_op 0
		.amdhsa_exception_fp_denorm_src 0
		.amdhsa_exception_fp_ieee_div_zero 0
		.amdhsa_exception_fp_ieee_overflow 0
		.amdhsa_exception_fp_ieee_underflow 0
		.amdhsa_exception_fp_ieee_inexact 0
		.amdhsa_exception_int_div_zero 0
	.end_amdhsa_kernel
	.section	.text._Z24compute_final_sum_kernelILi128EEviidPd,"axG",@progbits,_Z24compute_final_sum_kernelILi128EEviidPd,comdat
.Lfunc_end6:
	.size	_Z24compute_final_sum_kernelILi128EEviidPd, .Lfunc_end6-_Z24compute_final_sum_kernelILi128EEviidPd
                                        ; -- End function
	.set _Z24compute_final_sum_kernelILi128EEviidPd.num_vgpr, 13
	.set _Z24compute_final_sum_kernelILi128EEviidPd.num_agpr, 0
	.set _Z24compute_final_sum_kernelILi128EEviidPd.numbered_sgpr, 12
	.set _Z24compute_final_sum_kernelILi128EEviidPd.num_named_barrier, 0
	.set _Z24compute_final_sum_kernelILi128EEviidPd.private_seg_size, 0
	.set _Z24compute_final_sum_kernelILi128EEviidPd.uses_vcc, 1
	.set _Z24compute_final_sum_kernelILi128EEviidPd.uses_flat_scratch, 0
	.set _Z24compute_final_sum_kernelILi128EEviidPd.has_dyn_sized_stack, 0
	.set _Z24compute_final_sum_kernelILi128EEviidPd.has_recursion, 0
	.set _Z24compute_final_sum_kernelILi128EEviidPd.has_indirect_call, 0
	.section	.AMDGPU.csdata,"",@progbits
; Kernel info:
; codeLenInByte = 488
; TotalNumSgprs: 16
; NumVgprs: 13
; ScratchSize: 0
; MemoryBound: 0
; FloatMode: 240
; IeeeMode: 1
; LDSByteSize: 8 bytes/workgroup (compile time only)
; SGPRBlocks: 1
; VGPRBlocks: 3
; NumSGPRsForWavesPerEU: 16
; NumVGPRsForWavesPerEU: 13
; Occupancy: 10
; WaveLimiterHint : 0
; COMPUTE_PGM_RSRC2:SCRATCH_EN: 0
; COMPUTE_PGM_RSRC2:USER_SGPR: 6
; COMPUTE_PGM_RSRC2:TRAP_HANDLER: 0
; COMPUTE_PGM_RSRC2:TGID_X_EN: 1
; COMPUTE_PGM_RSRC2:TGID_Y_EN: 0
; COMPUTE_PGM_RSRC2:TGID_Z_EN: 0
; COMPUTE_PGM_RSRC2:TIDIG_COMP_CNT: 0
	.section	.text._Z21generate_paths_kernelILi256E10PayoffCallEviiT0_ddddPKdPd,"axG",@progbits,_Z21generate_paths_kernelILi256E10PayoffCallEviiT0_ddddPKdPd,comdat
	.protected	_Z21generate_paths_kernelILi256E10PayoffCallEviiT0_ddddPKdPd ; -- Begin function _Z21generate_paths_kernelILi256E10PayoffCallEviiT0_ddddPKdPd
	.globl	_Z21generate_paths_kernelILi256E10PayoffCallEviiT0_ddddPKdPd
	.p2align	8
	.type	_Z21generate_paths_kernelILi256E10PayoffCallEviiT0_ddddPKdPd,@function
_Z21generate_paths_kernelILi256E10PayoffCallEviiT0_ddddPKdPd: ; @_Z21generate_paths_kernelILi256E10PayoffCallEviiT0_ddddPKdPd
; %bb.0:
	s_load_dwordx2 s[20:21], s[4:5], 0x0
	v_lshl_or_b32 v2, s6, 8, v0
	s_waitcnt lgkmcnt(0)
	v_cmp_gt_i32_e32 vcc, s21, v2
	s_and_saveexec_b64 s[0:1], vcc
	s_cbranch_execz .LBB7_6
; %bb.1:
	s_load_dwordx8 s[8:15], s[4:5], 0x8
	v_mov_b32_e32 v0, 0
	v_bfrev_b32_e32 v1, 8
	s_load_dwordx4 s[16:19], s[4:5], 0x28
	s_load_dwordx2 s[6:7], s[4:5], 0x38
	v_mov_b32_e32 v11, 0x260
	s_waitcnt lgkmcnt(0)
	v_cmp_lt_f64_e32 vcc, s[10:11], v[0:1]
	v_mul_f64 v[9:10], s[16:17], -0.5
	s_and_b64 s[0:1], vcc, exec
	s_cselect_b32 s0, 0x100, 0
	v_mov_b32_e32 v0, s0
	v_ldexp_f64 v[0:1], s[10:11], v0
	s_cselect_b32 s0, 0xffffff80, 0
	s_cmp_lt_i32 s20, 2
	v_rsq_f64_e32 v[3:4], v[0:1]
	v_cmp_class_f64_e32 vcc, v[0:1], v11
	v_mul_f64 v[5:6], v[0:1], v[3:4]
	v_mul_f64 v[3:4], v[3:4], 0.5
	v_fma_f64 v[7:8], -v[3:4], v[5:6], 0.5
	v_fma_f64 v[5:6], v[5:6], v[7:8], v[5:6]
	v_fma_f64 v[3:4], v[3:4], v[7:8], v[3:4]
	v_fma_f64 v[7:8], -v[5:6], v[5:6], v[0:1]
	v_fma_f64 v[5:6], v[7:8], v[3:4], v[5:6]
	v_fma_f64 v[7:8], -v[5:6], v[5:6], v[0:1]
	v_fma_f64 v[3:4], v[7:8], v[3:4], v[5:6]
	v_mov_b32_e32 v5, s14
	v_mov_b32_e32 v6, s15
	v_fma_f64 v[5:6], s[16:17], v[9:10], v[5:6]
	v_ldexp_f64 v[7:8], v[3:4], s0
	v_mul_f64 v[4:5], s[10:11], v[5:6]
	v_cndmask_b32_e32 v1, v8, v1, vcc
	v_cndmask_b32_e32 v0, v7, v0, vcc
	v_mul_f64 v[6:7], v[0:1], s[16:17]
	s_cbranch_scc1 .LBB7_4
; %bb.2:
	v_ashrrev_i32_e32 v3, 31, v2
	v_mov_b32_e32 v0, s12
	v_lshlrev_b64 v[8:9], 3, v[2:3]
	s_ashr_i32 s1, s21, 31
	s_mov_b32 s0, s21
	v_mov_b32_e32 v1, s13
	s_mov_b32 s10, 0x652b82fe
	s_mov_b32 s12, 0xfefa39ef
	;; [unrolled: 1-line block ×14, first 2 shown]
	s_add_i32 s20, s20, -1
	s_lshl_b64 s[4:5], s[0:1], 3
	s_mov_b32 s11, 0x3ff71547
	s_mov_b32 s13, 0xbfe62e42
	;; [unrolled: 1-line block ×14, first 2 shown]
	v_mov_b32_e32 v10, 0xfca7ab0c
	v_mov_b32_e32 v11, 0x3e928af3
	;; [unrolled: 1-line block ×3, first 2 shown]
.LBB7_3:                                ; =>This Inner Loop Header: Depth=1
	v_mov_b32_e32 v13, s19
	v_add_co_u32_e32 v12, vcc, s18, v8
	v_addc_co_u32_e32 v13, vcc, v13, v9, vcc
	global_load_dwordx2 v[12:13], v[12:13], off
	s_add_i32 s20, s20, -1
	v_add_u32_e32 v2, s21, v2
	s_waitcnt vmcnt(0)
	v_fma_f64 v[12:13], v[6:7], v[12:13], v[4:5]
	v_mul_f64 v[14:15], v[12:13], s[10:11]
	v_cmp_nlt_f64_e32 vcc, s[40:41], v[12:13]
	v_cmp_ngt_f64_e64 s[0:1], s[42:43], v[12:13]
	v_rndne_f64_e32 v[14:15], v[14:15]
	v_fma_f64 v[16:17], v[14:15], s[12:13], v[12:13]
	v_add_co_u32_e64 v12, s[2:3], s6, v8
	v_fma_f64 v[16:17], v[14:15], s[14:15], v[16:17]
	v_cvt_i32_f64_e32 v14, v[14:15]
	v_fma_f64 v[18:19], v[16:17], s[16:17], v[10:11]
	v_fma_f64 v[18:19], v[16:17], v[18:19], s[22:23]
	;; [unrolled: 1-line block ×9, first 2 shown]
	v_fma_f64 v[18:19], v[16:17], v[18:19], 1.0
	v_fma_f64 v[16:17], v[16:17], v[18:19], 1.0
	v_ldexp_f64 v[14:15], v[16:17], v14
	v_mov_b32_e32 v16, s7
	v_mov_b32_e32 v17, s5
	v_cndmask_b32_e32 v15, v3, v15, vcc
	s_and_b64 vcc, s[0:1], vcc
	v_cndmask_b32_e64 v15, 0, v15, s[0:1]
	v_cndmask_b32_e32 v14, 0, v14, vcc
	v_mul_f64 v[0:1], v[0:1], v[14:15]
	v_add_co_u32_e32 v8, vcc, s4, v8
	v_addc_co_u32_e64 v13, s[0:1], v16, v9, s[2:3]
	v_addc_co_u32_e32 v9, vcc, v9, v17, vcc
	s_cmp_eq_u32 s20, 0
	global_store_dwordx2 v[12:13], v[0:1], off
	s_cbranch_scc0 .LBB7_3
	s_branch .LBB7_5
.LBB7_4:
	v_mov_b32_e32 v0, s12
	v_mov_b32_e32 v1, s13
.LBB7_5:
	v_ashrrev_i32_e32 v3, 31, v2
	v_lshlrev_b64 v[2:3], 3, v[2:3]
	v_mov_b32_e32 v9, s19
	v_add_co_u32_e32 v8, vcc, s18, v2
	v_addc_co_u32_e32 v9, vcc, v9, v3, vcc
	global_load_dwordx2 v[8:9], v[8:9], off
	s_mov_b32 s0, 0x652b82fe
	s_mov_b32 s1, 0x3ff71547
	v_mov_b32_e32 v10, 0xfca7ab0c
	v_mov_b32_e32 v11, 0x3e928af3
	s_mov_b32 s2, 0
	s_mov_b32 s3, 0xc090cc00
	s_waitcnt vmcnt(0)
	v_fma_f64 v[4:5], v[6:7], v[8:9], v[4:5]
	v_mul_f64 v[6:7], v[4:5], s[0:1]
	s_mov_b32 s0, 0xfefa39ef
	s_mov_b32 s1, 0xbfe62e42
	v_rndne_f64_e32 v[6:7], v[6:7]
	v_fma_f64 v[8:9], v[6:7], s[0:1], v[4:5]
	s_mov_b32 s0, 0x3b39803f
	s_mov_b32 s1, 0xbc7abc9e
	v_fma_f64 v[8:9], v[6:7], s[0:1], v[8:9]
	s_mov_b32 s0, 0x6a5dcb37
	s_mov_b32 s1, 0x3e5ade15
	v_cvt_i32_f64_e32 v6, v[6:7]
	v_fma_f64 v[10:11], v[8:9], s[0:1], v[10:11]
	s_mov_b32 s0, 0x623fde64
	s_mov_b32 s1, 0x3ec71dee
	v_fma_f64 v[10:11], v[8:9], v[10:11], s[0:1]
	s_mov_b32 s0, 0x7c89e6b0
	s_mov_b32 s1, 0x3efa0199
	;; [unrolled: 3-line block ×9, first 2 shown]
	v_cmp_nlt_f64_e32 vcc, s[0:1], v[4:5]
	v_cmp_ngt_f64_e64 s[0:1], s[2:3], v[4:5]
	v_fma_f64 v[10:11], v[8:9], v[10:11], 1.0
	v_fma_f64 v[8:9], v[8:9], v[10:11], 1.0
	v_ldexp_f64 v[6:7], v[8:9], v6
	v_mov_b32_e32 v8, 0x7ff00000
	v_cndmask_b32_e32 v7, v8, v7, vcc
	s_and_b64 vcc, s[0:1], vcc
	v_cndmask_b32_e64 v5, 0, v7, s[0:1]
	v_cndmask_b32_e32 v4, 0, v6, vcc
	v_fma_f64 v[0:1], v[0:1], v[4:5], -s[8:9]
	v_mov_b32_e32 v4, s7
	v_add_co_u32_e32 v2, vcc, s6, v2
	v_addc_co_u32_e32 v3, vcc, v4, v3, vcc
	v_max_f64 v[0:1], v[0:1], 0
	global_store_dwordx2 v[2:3], v[0:1], off
.LBB7_6:
	s_endpgm
	.section	.rodata,"a",@progbits
	.p2align	6, 0x0
	.amdhsa_kernel _Z21generate_paths_kernelILi256E10PayoffCallEviiT0_ddddPKdPd
		.amdhsa_group_segment_fixed_size 0
		.amdhsa_private_segment_fixed_size 0
		.amdhsa_kernarg_size 64
		.amdhsa_user_sgpr_count 6
		.amdhsa_user_sgpr_private_segment_buffer 1
		.amdhsa_user_sgpr_dispatch_ptr 0
		.amdhsa_user_sgpr_queue_ptr 0
		.amdhsa_user_sgpr_kernarg_segment_ptr 1
		.amdhsa_user_sgpr_dispatch_id 0
		.amdhsa_user_sgpr_flat_scratch_init 0
		.amdhsa_user_sgpr_private_segment_size 0
		.amdhsa_uses_dynamic_stack 0
		.amdhsa_system_sgpr_private_segment_wavefront_offset 0
		.amdhsa_system_sgpr_workgroup_id_x 1
		.amdhsa_system_sgpr_workgroup_id_y 0
		.amdhsa_system_sgpr_workgroup_id_z 0
		.amdhsa_system_sgpr_workgroup_info 0
		.amdhsa_system_vgpr_workitem_id 0
		.amdhsa_next_free_vgpr 20
		.amdhsa_next_free_sgpr 44
		.amdhsa_reserve_vcc 1
		.amdhsa_reserve_flat_scratch 0
		.amdhsa_float_round_mode_32 0
		.amdhsa_float_round_mode_16_64 0
		.amdhsa_float_denorm_mode_32 3
		.amdhsa_float_denorm_mode_16_64 3
		.amdhsa_dx10_clamp 1
		.amdhsa_ieee_mode 1
		.amdhsa_fp16_overflow 0
		.amdhsa_exception_fp_ieee_invalid_op 0
		.amdhsa_exception_fp_denorm_src 0
		.amdhsa_exception_fp_ieee_div_zero 0
		.amdhsa_exception_fp_ieee_overflow 0
		.amdhsa_exception_fp_ieee_underflow 0
		.amdhsa_exception_fp_ieee_inexact 0
		.amdhsa_exception_int_div_zero 0
	.end_amdhsa_kernel
	.section	.text._Z21generate_paths_kernelILi256E10PayoffCallEviiT0_ddddPKdPd,"axG",@progbits,_Z21generate_paths_kernelILi256E10PayoffCallEviiT0_ddddPKdPd,comdat
.Lfunc_end7:
	.size	_Z21generate_paths_kernelILi256E10PayoffCallEviiT0_ddddPKdPd, .Lfunc_end7-_Z21generate_paths_kernelILi256E10PayoffCallEviiT0_ddddPKdPd
                                        ; -- End function
	.set _Z21generate_paths_kernelILi256E10PayoffCallEviiT0_ddddPKdPd.num_vgpr, 20
	.set _Z21generate_paths_kernelILi256E10PayoffCallEviiT0_ddddPKdPd.num_agpr, 0
	.set _Z21generate_paths_kernelILi256E10PayoffCallEviiT0_ddddPKdPd.numbered_sgpr, 44
	.set _Z21generate_paths_kernelILi256E10PayoffCallEviiT0_ddddPKdPd.num_named_barrier, 0
	.set _Z21generate_paths_kernelILi256E10PayoffCallEviiT0_ddddPKdPd.private_seg_size, 0
	.set _Z21generate_paths_kernelILi256E10PayoffCallEviiT0_ddddPKdPd.uses_vcc, 1
	.set _Z21generate_paths_kernelILi256E10PayoffCallEviiT0_ddddPKdPd.uses_flat_scratch, 0
	.set _Z21generate_paths_kernelILi256E10PayoffCallEviiT0_ddddPKdPd.has_dyn_sized_stack, 0
	.set _Z21generate_paths_kernelILi256E10PayoffCallEviiT0_ddddPKdPd.has_recursion, 0
	.set _Z21generate_paths_kernelILi256E10PayoffCallEviiT0_ddddPKdPd.has_indirect_call, 0
	.section	.AMDGPU.csdata,"",@progbits
; Kernel info:
; codeLenInByte = 1276
; TotalNumSgprs: 48
; NumVgprs: 20
; ScratchSize: 0
; MemoryBound: 0
; FloatMode: 240
; IeeeMode: 1
; LDSByteSize: 0 bytes/workgroup (compile time only)
; SGPRBlocks: 5
; VGPRBlocks: 4
; NumSGPRsForWavesPerEU: 48
; NumVGPRsForWavesPerEU: 20
; Occupancy: 10
; WaveLimiterHint : 0
; COMPUTE_PGM_RSRC2:SCRATCH_EN: 0
; COMPUTE_PGM_RSRC2:USER_SGPR: 6
; COMPUTE_PGM_RSRC2:TRAP_HANDLER: 0
; COMPUTE_PGM_RSRC2:TGID_X_EN: 1
; COMPUTE_PGM_RSRC2:TGID_Y_EN: 0
; COMPUTE_PGM_RSRC2:TGID_Z_EN: 0
; COMPUTE_PGM_RSRC2:TIDIG_COMP_CNT: 0
	.section	.text._Z18prepare_svd_kernelILi256E10PayoffCallEviiT0_PKdPiPd,"axG",@progbits,_Z18prepare_svd_kernelILi256E10PayoffCallEviiT0_PKdPiPd,comdat
	.protected	_Z18prepare_svd_kernelILi256E10PayoffCallEviiT0_PKdPiPd ; -- Begin function _Z18prepare_svd_kernelILi256E10PayoffCallEviiT0_PKdPiPd
	.globl	_Z18prepare_svd_kernelILi256E10PayoffCallEviiT0_PKdPiPd
	.p2align	8
	.type	_Z18prepare_svd_kernelILi256E10PayoffCallEviiT0_PKdPiPd,@function
_Z18prepare_svd_kernelILi256E10PayoffCallEviiT0_PKdPiPd: ; @_Z18prepare_svd_kernelILi256E10PayoffCallEviiT0_PKdPiPd
; %bb.0:
	s_mov_b64 s[30:31], s[2:3]
	s_mov_b64 s[28:29], s[0:1]
	s_add_u32 s28, s28, s7
	s_addc_u32 s29, s29, 0
	v_cmp_gt_u32_e64 s[0:1], 12, v0
	s_and_saveexec_b64 s[2:3], s[0:1]
; %bb.1:
	v_mov_b32_e32 v1, 0
	v_lshlrev_b32_e32 v3, 3, v0
	v_mov_b32_e32 v2, v1
	ds_write_b64 v3, v[1:2] offset:2096
; %bb.2:
	s_or_b64 exec, exec, s[2:3]
	s_load_dwordx2 s[16:17], s[4:5], 0x0
	s_load_dwordx4 s[8:11], s[4:5], 0x18
	v_mov_b32_e32 v1, 0
	v_mov_b32_e32 v3, 0
	;; [unrolled: 1-line block ×4, first 2 shown]
	s_waitcnt lgkmcnt(0)
	v_cmp_gt_i32_e32 vcc, s16, v0
	v_mov_b32_e32 v2, 0
	v_mov_b32_e32 v4, 0
	;; [unrolled: 1-line block ×5, first 2 shown]
	s_barrier
	s_and_saveexec_b64 s[18:19], vcc
	s_cbranch_execz .LBB8_22
; %bb.3:
	s_load_dwordx4 s[12:15], s[4:5], 0x8
	v_lshlrev_b32_e32 v1, 2, v0
	v_add_u32_e32 v12, 0x430, v1
	v_add_u32_e32 v14, 32, v1
	v_mov_b32_e32 v1, 0
	v_mov_b32_e32 v3, 0
	;; [unrolled: 1-line block ×4, first 2 shown]
	s_mul_i32 s7, s16, s6
	v_mov_b32_e32 v13, 0
	v_cmp_eq_u32_e64 s[2:3], 0, v0
	v_mov_b32_e32 v2, 0
	s_mov_b64 s[20:21], 0
	s_waitcnt lgkmcnt(0)
	v_mov_b32_e32 v15, s15
	v_mov_b32_e32 v11, 0
	v_mov_b32_e32 v4, 0
	v_mov_b32_e32 v6, 0
	v_mov_b32_e32 v8, 0
	v_mov_b32_e32 v16, 0
	v_mov_b32_e32 v17, v0
	s_branch .LBB8_5
.LBB8_4:                                ;   in Loop: Header=BB8_5 Depth=1
	v_add_u32_e32 v17, 0x100, v17
	v_cmp_le_i32_e32 vcc, s16, v17
	s_or_b64 s[20:21], vcc, s[20:21]
	s_andn2_b64 exec, exec, s[20:21]
	s_cbranch_execz .LBB8_21
.LBB8_5:                                ; =>This Loop Header: Depth=1
                                        ;     Child Loop BB8_7 Depth 2
                                        ;     Child Loop BB8_16 Depth 2
	v_add_u32_e32 v9, s7, v17
	v_ashrrev_i32_e32 v10, 31, v9
	v_lshlrev_b64 v[9:10], 3, v[9:10]
	v_add_co_u32_e32 v9, vcc, s14, v9
	v_addc_co_u32_e32 v10, vcc, v15, v10, vcc
	global_load_dwordx2 v[9:10], v[9:10], off
	s_waitcnt vmcnt(0)
	v_cmp_lt_f64_e64 s[4:5], s[12:13], v[9:10]
	v_cndmask_b32_e64 v18, 0, 1, s[4:5]
	ds_write_b32 v12, v18
	s_waitcnt lgkmcnt(0)
	s_barrier
	s_and_saveexec_b64 s[22:23], s[2:3]
	s_cbranch_execz .LBB8_8
; %bb.6:                                ;   in Loop: Header=BB8_5 Depth=1
	s_mov_b32 s15, 0
	v_mov_b32_e32 v19, 0
	ds_write_b32 v13, v13 offset:32
.LBB8_7:                                ;   Parent Loop BB8_5 Depth=1
                                        ; =>  This Inner Loop Header: Depth=2
	s_add_i32 s24, s15, 0x430
	v_mov_b32_e32 v20, s24
	ds_read2_b32 v[20:21], v20 offset1:1
	v_mov_b32_e32 v22, s15
	s_add_i32 s24, s15, 0x438
	s_waitcnt lgkmcnt(0)
	v_add_u32_e32 v19, v20, v19
	v_add_u32_e32 v21, v21, v19
	ds_write2_b32 v22, v19, v21 offset0:9 offset1:10
	v_mov_b32_e32 v19, s24
	ds_read2_b32 v[19:20], v19 offset1:1
	s_add_i32 s24, s15, 0x440
	s_waitcnt lgkmcnt(0)
	v_add_u32_e32 v19, v19, v21
	v_add_u32_e32 v21, v20, v19
	ds_write2_b32 v22, v19, v21 offset0:11 offset1:12
	v_mov_b32_e32 v19, s24
	ds_read2_b32 v[19:20], v19 offset1:1
	;; [unrolled: 7-line block ×6, first 2 shown]
	s_add_i32 s24, s15, 0x468
	s_add_i32 s15, s15, 64
	s_cmpk_lg_i32 s15, 0x400
	s_waitcnt lgkmcnt(0)
	v_add_u32_e32 v19, v19, v21
	v_add_u32_e32 v21, v20, v19
	ds_write2_b32 v22, v19, v21 offset0:21 offset1:22
	v_mov_b32_e32 v19, s24
	ds_read2_b32 v[19:20], v19 offset1:1
	s_waitcnt lgkmcnt(0)
	v_add_u32_e32 v21, v19, v21
	v_add_u32_e32 v19, v20, v21
	ds_write2_b32 v22, v21, v19 offset0:23 offset1:24
	s_cbranch_scc1 .LBB8_7
.LBB8_8:                                ;   in Loop: Header=BB8_5 Depth=1
	s_or_b64 exec, exec, s[22:23]
	v_cmp_lt_i32_e32 vcc, 2, v16
	s_waitcnt lgkmcnt(0)
	s_barrier
	s_cbranch_vccnz .LBB8_13
; %bb.9:                                ;   in Loop: Header=BB8_5 Depth=1
	ds_read_b32 v19, v13 offset:1056
	s_and_saveexec_b64 s[22:23], s[4:5]
	s_cbranch_execz .LBB8_12
; %bb.10:                               ;   in Loop: Header=BB8_5 Depth=1
	ds_read_b32 v20, v14
	s_waitcnt lgkmcnt(0)
	v_add_u32_e32 v20, v20, v16
	v_cmp_gt_i32_e32 vcc, 3, v20
	s_and_b64 exec, exec, vcc
; %bb.11:                               ;   in Loop: Header=BB8_5 Depth=1
	v_lshlrev_b32_e32 v20, 3, v20
	ds_write_b64 v20, v[9:10] offset:2096
.LBB8_12:                               ;   in Loop: Header=BB8_5 Depth=1
	s_or_b64 exec, exec, s[22:23]
	s_waitcnt lgkmcnt(0)
	v_add_u32_e32 v16, v19, v16
	s_barrier
.LBB8_13:                               ;   in Loop: Header=BB8_5 Depth=1
	s_and_saveexec_b64 s[22:23], s[2:3]
; %bb.14:                               ;   in Loop: Header=BB8_5 Depth=1
	ds_write_b32 v13, v13 offset:1060
; %bb.15:                               ;   in Loop: Header=BB8_5 Depth=1
	s_or_b64 exec, exec, s[22:23]
	s_mov_b64 s[22:23], exec
	s_mov_b32 s15, 0
	s_waitcnt lgkmcnt(0)
	s_barrier
.LBB8_16:                               ;   Parent Loop BB8_5 Depth=1
                                        ; =>  This Inner Loop Header: Depth=2
	s_ff1_i32_b64 s24, s[22:23]
	v_readlane_b32 s26, v18, s24
	s_lshl_b64 s[24:25], 1, s24
	s_or_b32 s15, s15, s26
	s_andn2_b64 s[22:23], s[22:23], s[24:25]
	s_cmp_lg_u64 s[22:23], 0
	s_cbranch_scc1 .LBB8_16
; %bb.17:                               ;   in Loop: Header=BB8_5 Depth=1
	v_mbcnt_lo_u32_b32 v19, exec_lo, 0
	v_mbcnt_hi_u32_b32 v19, exec_hi, v19
	v_cmp_eq_u32_e32 vcc, 0, v19
	s_and_saveexec_b64 s[22:23], vcc
	s_xor_b64 s[22:23], exec, s[22:23]
; %bb.18:                               ;   in Loop: Header=BB8_5 Depth=1
	v_mov_b32_e32 v19, s15
	ds_or_b32 v13, v19 offset:1060
; %bb.19:                               ;   in Loop: Header=BB8_5 Depth=1
	s_or_b64 exec, exec, s[22:23]
	s_waitcnt lgkmcnt(0)
	s_barrier
	ds_read_b32 v19, v13 offset:1060
	s_waitcnt lgkmcnt(0)
	v_cmp_eq_u32_e32 vcc, 0, v19
	s_cbranch_vccnz .LBB8_4
; %bb.20:                               ;   in Loop: Header=BB8_5 Depth=1
	v_mul_f64 v[19:20], v[9:10], v[9:10]
	v_cndmask_b32_e64 v10, 0, v10, s[4:5]
	v_cndmask_b32_e64 v9, 0, v9, s[4:5]
	v_add_f64 v[7:8], v[7:8], v[9:10]
	v_add_u32_e32 v11, v11, v18
	v_cndmask_b32_e64 v20, 0, v20, s[4:5]
	v_cndmask_b32_e64 v19, 0, v19, s[4:5]
	v_add_f64 v[5:6], v[5:6], v[19:20]
	v_fma_f64 v[3:4], v[19:20], v[9:10], v[3:4]
	v_fma_f64 v[1:2], v[19:20], v[19:20], v[1:2]
	s_branch .LBB8_4
.LBB8_21:
	s_or_b64 exec, exec, s[20:21]
.LBB8_22:
	s_or_b64 exec, exec, s[18:19]
	s_mov_b32 s4, 0
	v_cmp_eq_u32_e32 vcc, 0, v0
	s_barrier
	s_and_saveexec_b64 s[2:3], vcc
; %bb.23:
	v_mov_b32_e32 v9, 0
	ds_write_b32 v9, v9 offset:1060
; %bb.24:
	s_or_b64 exec, exec, s[2:3]
	s_mov_b64 s[2:3], exec
	s_waitcnt lgkmcnt(0)
	s_barrier
.LBB8_25:                               ; =>This Inner Loop Header: Depth=1
	s_ff1_i32_b64 s5, s[2:3]
	v_readlane_b32 s7, v11, s5
	s_lshl_b64 s[12:13], 1, s5
	s_add_i32 s4, s4, s7
	s_andn2_b64 s[2:3], s[2:3], s[12:13]
	s_cmp_lg_u64 s[2:3], 0
	s_cbranch_scc1 .LBB8_25
; %bb.26:
	v_mbcnt_lo_u32_b32 v9, exec_lo, 0
	v_mbcnt_hi_u32_b32 v9, exec_hi, v9
	v_cmp_eq_u32_e64 s[2:3], 0, v9
	s_and_saveexec_b64 s[12:13], s[2:3]
	s_xor_b64 s[2:3], exec, s[12:13]
; %bb.27:
	v_mov_b32_e32 v9, 0
	v_mov_b32_e32 v10, s4
	ds_add_u32 v9, v10 offset:1060
; %bb.28:
	s_or_b64 exec, exec, s[2:3]
	v_mov_b32_e32 v9, 0
	s_waitcnt lgkmcnt(0)
	s_barrier
	ds_read_b32 v9, v9 offset:1060
	s_waitcnt lgkmcnt(0)
	v_readfirstlane_b32 s2, v9
	s_cmp_ge_i32 s2, s17
	s_cselect_b64 s[2:3], -1, 0
	s_xor_b64 s[4:5], vcc, -1
	s_or_b64 s[2:3], s[4:5], s[2:3]
	s_and_saveexec_b64 s[4:5], s[2:3]
	s_xor_b64 s[12:13], exec, s[4:5]
	s_cbranch_execnz .LBB8_31
; %bb.29:
	s_andn2_saveexec_b64 s[0:1], s[12:13]
	s_cbranch_execnz .LBB8_92
.LBB8_30:
	s_endpgm
.LBB8_31:
	s_and_saveexec_b64 s[2:3], vcc
	s_cbranch_execz .LBB8_33
; %bb.32:
	s_mov_b32 s16, 0
	s_mov_b32 s17, s16
	;; [unrolled: 1-line block ×4, first 2 shown]
	v_mov_b32_e32 v9, s16
	v_mov_b32_e32 v13, 0
	;; [unrolled: 1-line block ×5, first 2 shown]
	ds_write_b128 v13, v[9:12]
	ds_write_b128 v13, v[9:12] offset:16
.LBB8_33:
	s_or_b64 exec, exec, s[2:3]
	v_mov_b32_e32 v9, 0
	s_mov_b64 s[2:3], exec
	v_bfrev_b32_e32 v10, 1
	s_waitcnt lgkmcnt(0)
	s_barrier
.LBB8_34:                               ; =>This Inner Loop Header: Depth=1
	s_ff1_i32_b64 s7, s[2:3]
	v_readlane_b32 s5, v8, s7
	v_readlane_b32 s4, v7, s7
	v_add_f64 v[9:10], v[9:10], s[4:5]
	s_lshl_b64 s[4:5], 1, s7
	s_andn2_b64 s[2:3], s[2:3], s[4:5]
	s_cmp_lg_u64 s[2:3], 0
	s_cbranch_scc1 .LBB8_34
; %bb.35:
	v_mbcnt_lo_u32_b32 v7, exec_lo, 0
	v_mbcnt_hi_u32_b32 v7, exec_hi, v7
	v_cmp_eq_u32_e64 s[2:3], 0, v7
	s_and_saveexec_b64 s[4:5], s[2:3]
	s_xor_b64 s[4:5], exec, s[4:5]
	s_cbranch_execz .LBB8_39
; %bb.36:
	v_mov_b32_e32 v11, 0
	ds_read_b64 v[7:8], v11
	s_mov_b64 s[14:15], 0
.LBB8_37:                               ; =>This Inner Loop Header: Depth=1
	s_waitcnt lgkmcnt(0)
	v_add_f64 v[12:13], v[7:8], v[9:10]
	ds_cmpst_rtn_b64 v[12:13], v11, v[7:8], v[12:13]
	s_waitcnt lgkmcnt(0)
	v_cmp_eq_u64_e64 s[2:3], v[12:13], v[7:8]
	v_mov_b32_e32 v7, v12
	s_or_b64 s[14:15], s[2:3], s[14:15]
	v_mov_b32_e32 v8, v13
	s_andn2_b64 exec, exec, s[14:15]
	s_cbranch_execnz .LBB8_37
; %bb.38:
	s_or_b64 exec, exec, s[14:15]
.LBB8_39:
	s_or_b64 exec, exec, s[4:5]
	v_mov_b32_e32 v7, 0
	s_mov_b64 s[2:3], exec
	v_bfrev_b32_e32 v8, 1
.LBB8_40:                               ; =>This Inner Loop Header: Depth=1
	s_ff1_i32_b64 s7, s[2:3]
	v_readlane_b32 s5, v6, s7
	v_readlane_b32 s4, v5, s7
	v_add_f64 v[7:8], v[7:8], s[4:5]
	s_lshl_b64 s[4:5], 1, s7
	s_andn2_b64 s[2:3], s[2:3], s[4:5]
	s_cmp_lg_u64 s[2:3], 0
	s_cbranch_scc1 .LBB8_40
; %bb.41:
	v_mbcnt_lo_u32_b32 v5, exec_lo, 0
	v_mbcnt_hi_u32_b32 v5, exec_hi, v5
	v_cmp_eq_u32_e64 s[2:3], 0, v5
	s_and_saveexec_b64 s[4:5], s[2:3]
	s_xor_b64 s[4:5], exec, s[4:5]
	s_cbranch_execz .LBB8_45
; %bb.42:
	v_mov_b32_e32 v9, 0
	ds_read_b64 v[5:6], v9 offset:8
	s_mov_b64 s[14:15], 0
.LBB8_43:                               ; =>This Inner Loop Header: Depth=1
	s_waitcnt lgkmcnt(0)
	v_add_f64 v[10:11], v[5:6], v[7:8]
	ds_cmpst_rtn_b64 v[10:11], v9, v[5:6], v[10:11] offset:8
	s_waitcnt lgkmcnt(0)
	v_cmp_eq_u64_e64 s[2:3], v[10:11], v[5:6]
	v_mov_b32_e32 v5, v10
	s_or_b64 s[14:15], s[2:3], s[14:15]
	v_mov_b32_e32 v6, v11
	s_andn2_b64 exec, exec, s[14:15]
	s_cbranch_execnz .LBB8_43
; %bb.44:
	s_or_b64 exec, exec, s[14:15]
.LBB8_45:
	s_or_b64 exec, exec, s[4:5]
	v_mov_b32_e32 v5, 0
	s_mov_b64 s[2:3], exec
	v_bfrev_b32_e32 v6, 1
.LBB8_46:                               ; =>This Inner Loop Header: Depth=1
	s_ff1_i32_b64 s7, s[2:3]
	v_readlane_b32 s5, v4, s7
	v_readlane_b32 s4, v3, s7
	v_add_f64 v[5:6], v[5:6], s[4:5]
	s_lshl_b64 s[4:5], 1, s7
	s_andn2_b64 s[2:3], s[2:3], s[4:5]
	s_cmp_lg_u64 s[2:3], 0
	s_cbranch_scc1 .LBB8_46
; %bb.47:
	v_mbcnt_lo_u32_b32 v3, exec_lo, 0
	v_mbcnt_hi_u32_b32 v3, exec_hi, v3
	v_cmp_eq_u32_e64 s[2:3], 0, v3
	s_and_saveexec_b64 s[4:5], s[2:3]
	s_xor_b64 s[4:5], exec, s[4:5]
	s_cbranch_execz .LBB8_51
; %bb.48:
	v_mov_b32_e32 v7, 0
	ds_read_b64 v[3:4], v7 offset:16
	s_mov_b64 s[14:15], 0
.LBB8_49:                               ; =>This Inner Loop Header: Depth=1
	s_waitcnt lgkmcnt(0)
	v_add_f64 v[8:9], v[3:4], v[5:6]
	ds_cmpst_rtn_b64 v[8:9], v7, v[3:4], v[8:9] offset:16
	s_waitcnt lgkmcnt(0)
	v_cmp_eq_u64_e64 s[2:3], v[8:9], v[3:4]
	v_mov_b32_e32 v3, v8
	s_or_b64 s[14:15], s[2:3], s[14:15]
	v_mov_b32_e32 v4, v9
	s_andn2_b64 exec, exec, s[14:15]
	s_cbranch_execnz .LBB8_49
; %bb.50:
	s_or_b64 exec, exec, s[14:15]
.LBB8_51:
	;; [unrolled: 38-line block ×3, first 2 shown]
	s_or_b64 exec, exec, s[4:5]
	s_barrier
	s_and_saveexec_b64 s[14:15], vcc
	s_cbranch_execz .LBB8_89
; %bb.58:
	v_mov_b32_e32 v41, 0
	ds_read_b32 v1, v41 offset:1060
	ds_read_b128 v[5:8], v41 offset:2096
	s_mov_b32 s4, 0
	s_brev_b32 s5, 8
	v_mov_b32_e32 v43, 0x260
	s_waitcnt lgkmcnt(1)
	v_cvt_f64_i32_e32 v[17:18], v1
	s_waitcnt lgkmcnt(0)
	v_mul_f64 v[35:36], v[5:6], v[5:6]
	v_cmp_gt_f64_e32 vcc, s[4:5], v[17:18]
	s_and_b64 s[2:3], vcc, exec
	s_cselect_b32 s2, 0x100, 0
	v_ldexp_f64 v[1:2], v[17:18], s2
	s_cselect_b32 s2, 0xffffff80, 0
	v_rsq_f64_e32 v[3:4], v[1:2]
	v_cmp_class_f64_e32 vcc, v[1:2], v43
	v_mul_f64 v[9:10], v[1:2], v[3:4]
	v_mul_f64 v[3:4], v[3:4], 0.5
	v_fma_f64 v[11:12], -v[3:4], v[9:10], 0.5
	v_fma_f64 v[9:10], v[9:10], v[11:12], v[9:10]
	v_fma_f64 v[3:4], v[3:4], v[11:12], v[3:4]
	v_fma_f64 v[11:12], -v[9:10], v[9:10], v[1:2]
	v_fma_f64 v[9:10], v[11:12], v[3:4], v[9:10]
	v_fma_f64 v[11:12], -v[9:10], v[9:10], v[1:2]
	v_fma_f64 v[3:4], v[11:12], v[3:4], v[9:10]
	v_add_f64 v[9:10], v[17:18], -1.0
	v_ldexp_f64 v[3:4], v[3:4], s2
	v_cndmask_b32_e32 v2, v4, v2, vcc
	v_cndmask_b32_e32 v1, v3, v1, vcc
	v_add_f64 v[3:4], v[1:2], 1.0
	v_div_scale_f64 v[11:12], s[2:3], v[3:4], v[3:4], -v[9:10]
	v_rcp_f64_e32 v[13:14], v[11:12]
	v_fma_f64 v[15:16], -v[11:12], v[13:14], 1.0
	v_fma_f64 v[13:14], v[13:14], v[15:16], v[13:14]
	v_div_scale_f64 v[15:16], vcc, -v[9:10], v[3:4], -v[9:10]
	v_fma_f64 v[19:20], -v[11:12], v[13:14], 1.0
	v_fma_f64 v[13:14], v[13:14], v[19:20], v[13:14]
	v_mul_f64 v[19:20], v[15:16], v[13:14]
	v_fma_f64 v[11:12], -v[11:12], v[19:20], v[15:16]
	v_div_fmas_f64 v[11:12], v[11:12], v[13:14], v[19:20]
	v_div_fixup_f64 v[15:16], v[11:12], v[3:4], -v[9:10]
	v_mul_f64 v[3:4], v[15:16], v[15:16]
	v_fma_f64 v[9:10], v[15:16], v[15:16], v[9:10]
	v_div_scale_f64 v[13:14], s[2:3], v[15:16], v[15:16], 1.0
	v_add_f64 v[3:4], v[3:4], v[3:4]
	v_div_scale_f64 v[11:12], s[2:3], v[9:10], v[9:10], v[3:4]
	v_rcp_f64_e32 v[21:22], v[13:14]
	v_div_scale_f64 v[27:28], s[2:3], 1.0, v[15:16], 1.0
	v_rcp_f64_e32 v[19:20], v[11:12]
	v_fma_f64 v[25:26], -v[13:14], v[21:22], 1.0
	v_fma_f64 v[21:22], v[21:22], v[25:26], v[21:22]
	v_fma_f64 v[23:24], -v[11:12], v[19:20], 1.0
	v_fma_f64 v[29:30], -v[13:14], v[21:22], 1.0
	v_fma_f64 v[19:20], v[19:20], v[23:24], v[19:20]
	v_div_scale_f64 v[23:24], vcc, v[3:4], v[9:10], v[3:4]
	v_fma_f64 v[21:22], v[21:22], v[29:30], v[21:22]
	v_fma_f64 v[25:26], -v[11:12], v[19:20], 1.0
	v_mul_f64 v[29:30], v[27:28], v[21:22]
	v_fma_f64 v[19:20], v[19:20], v[25:26], v[19:20]
	v_fma_f64 v[13:14], -v[13:14], v[29:30], v[27:28]
	v_mul_f64 v[25:26], v[23:24], v[19:20]
	v_fma_f64 v[11:12], -v[11:12], v[25:26], v[23:24]
	v_div_fmas_f64 v[11:12], v[11:12], v[19:20], v[25:26]
	s_mov_b64 vcc, s[2:3]
	v_div_fmas_f64 v[13:14], v[13:14], v[21:22], v[29:30]
	s_mov_b32 s2, 0x97d889bc
	s_mov_b32 s3, 0x3c9cd2b2
	v_div_fixup_f64 v[3:4], v[11:12], v[9:10], v[3:4]
	ds_read_b128 v[19:22], v41
	ds_read_b128 v[9:12], v41 offset:16
	v_div_fixup_f64 v[39:40], v[13:14], v[15:16], 1.0
	s_waitcnt lgkmcnt(1)
	v_add_f64 v[13:14], v[19:20], -v[5:6]
	v_fma_f64 v[33:34], -v[5:6], v[5:6], v[21:22]
	v_add_f64 v[21:22], v[17:18], -2.0
	v_mul_f64 v[29:30], v[39:40], v[3:4]
	v_fma_f64 v[23:24], -v[7:8], v[7:8], v[33:34]
	v_mul_f64 v[31:32], v[39:40], v[29:30]
	v_mul_f64 v[44:45], v[33:34], v[29:30]
	;; [unrolled: 1-line block ×3, first 2 shown]
	v_fma_f64 v[27:28], v[5:6], v[29:30], v[19:20]
	v_add_f64 v[19:20], v[13:14], -v[7:8]
	v_add_f64 v[25:26], v[27:28], v[27:28]
	v_mul_f64 v[37:38], v[21:22], v[27:28]
	v_fma_f64 v[21:22], -v[19:20], v[25:26], v[23:24]
	v_add_f64 v[25:26], -v[3:4], 1.0
	v_mul_f64 v[3:4], v[13:14], v[29:30]
	v_fma_f64 v[13:14], v[27:28], v[37:38], v[21:22]
	v_fma_f64 v[44:45], v[35:36], v[25:26], -v[44:45]
	v_fma_f64 v[3:4], v[5:6], v[25:26], -v[3:4]
	ds_read_b64 v[25:26], v41 offset:2112
	v_add_f64 v[21:22], v[7:8], -v[27:28]
	buffer_store_dword v1, off, s[28:31], 0 offset:24 ; 4-byte Folded Spill
	s_nop 0
	buffer_store_dword v2, off, s[28:31], 0 offset:28 ; 4-byte Folded Spill
	buffer_store_dword v3, off, s[28:31], 0 offset:32 ; 4-byte Folded Spill
	;; [unrolled: 1-line block ×3, first 2 shown]
	v_cmp_lt_f64_e64 s[2:3], |v[13:14]|, s[2:3]
	s_and_b64 vcc, exec, s[2:3]
	ds_write_b128 v41, v[1:4] offset:2096
	buffer_store_dword v44, off, s[28:31], 0 offset:40 ; 4-byte Folded Spill
	s_nop 0
	buffer_store_dword v45, off, s[28:31], 0 offset:44 ; 4-byte Folded Spill
	ds_write_b64 v41, v[44:45] offset:2112
	v_mov_b32_e32 v41, 0
	v_mov_b32_e32 v42, 0
	s_cbranch_vccnz .LBB8_64
; %bb.59:
	v_fma_f64 v[15:16], v[21:22], v[21:22], v[13:14]
	v_cmp_gt_f64_e32 vcc, s[4:5], v[15:16]
	s_mov_b64 s[4:5], 0
	s_and_b64 s[2:3], vcc, exec
	s_cselect_b32 s2, 0x100, 0
	v_ldexp_f64 v[15:16], v[15:16], s2
	s_cselect_b32 s2, 0xffffff80, 0
	v_cmp_nge_f64_e32 vcc, 0, v[21:22]
	v_rsq_f64_e32 v[39:40], v[15:16]
	s_and_b64 vcc, exec, vcc
	v_mul_f64 v[41:42], v[15:16], v[39:40]
	v_mul_f64 v[39:40], v[39:40], 0.5
	v_fma_f64 v[44:45], -v[39:40], v[41:42], 0.5
	v_fma_f64 v[41:42], v[41:42], v[44:45], v[41:42]
	v_fma_f64 v[39:40], v[39:40], v[44:45], v[39:40]
	v_fma_f64 v[44:45], -v[41:42], v[41:42], v[15:16]
	v_fma_f64 v[41:42], v[44:45], v[39:40], v[41:42]
	v_fma_f64 v[44:45], -v[41:42], v[41:42], v[15:16]
	v_fma_f64 v[39:40], v[44:45], v[39:40], v[41:42]
	v_ldexp_f64 v[39:40], v[39:40], s2
	v_cmp_class_f64_e64 s[2:3], v[15:16], v43
	v_cndmask_b32_e64 v40, v40, v16, s[2:3]
	v_cndmask_b32_e64 v39, v39, v15, s[2:3]
	s_cbranch_vccnz .LBB8_61
; %bb.60:
	v_add_f64 v[15:16], v[21:22], -v[39:40]
	s_andn2_b64 vcc, exec, s[4:5]
	s_cbranch_vccz .LBB8_62
	s_branch .LBB8_63
.LBB8_61:
                                        ; implicit-def: $vgpr15_vgpr16
.LBB8_62:
	v_add_f64 v[15:16], v[21:22], v[39:40]
	v_div_scale_f64 v[39:40], s[2:3], v[15:16], v[15:16], -v[13:14]
	v_div_scale_f64 v[45:46], vcc, -v[13:14], v[15:16], -v[13:14]
	v_rcp_f64_e32 v[41:42], v[39:40]
	v_fma_f64 v[43:44], -v[39:40], v[41:42], 1.0
	v_fma_f64 v[41:42], v[41:42], v[43:44], v[41:42]
	v_fma_f64 v[43:44], -v[39:40], v[41:42], 1.0
	v_fma_f64 v[41:42], v[41:42], v[43:44], v[41:42]
	v_mul_f64 v[43:44], v[45:46], v[41:42]
	v_fma_f64 v[39:40], -v[39:40], v[43:44], v[45:46]
	v_div_fmas_f64 v[39:40], v[39:40], v[41:42], v[43:44]
	v_div_fixup_f64 v[15:16], v[39:40], v[15:16], -v[13:14]
.LBB8_63:
	v_mul_f64 v[39:40], v[15:16], v[15:16]
	v_fma_f64 v[41:42], v[15:16], v[15:16], v[13:14]
	v_div_scale_f64 v[45:46], s[2:3], v[15:16], v[15:16], 1.0
	v_add_f64 v[39:40], v[39:40], v[39:40]
	v_div_scale_f64 v[43:44], s[2:3], v[41:42], v[41:42], v[39:40]
	v_rcp_f64_e32 v[49:50], v[45:46]
	v_div_scale_f64 v[55:56], s[2:3], 1.0, v[15:16], 1.0
	v_rcp_f64_e32 v[47:48], v[43:44]
	v_fma_f64 v[53:54], -v[45:46], v[49:50], 1.0
	v_fma_f64 v[49:50], v[49:50], v[53:54], v[49:50]
	v_fma_f64 v[51:52], -v[43:44], v[47:48], 1.0
	v_fma_f64 v[57:58], -v[45:46], v[49:50], 1.0
	v_fma_f64 v[47:48], v[47:48], v[51:52], v[47:48]
	v_div_scale_f64 v[51:52], vcc, v[39:40], v[41:42], v[39:40]
	v_fma_f64 v[49:50], v[49:50], v[57:58], v[49:50]
	v_fma_f64 v[53:54], -v[43:44], v[47:48], 1.0
	v_mul_f64 v[57:58], v[55:56], v[49:50]
	v_fma_f64 v[47:48], v[47:48], v[53:54], v[47:48]
	v_fma_f64 v[45:46], -v[45:46], v[57:58], v[55:56]
	v_mul_f64 v[53:54], v[51:52], v[47:48]
	v_fma_f64 v[43:44], -v[43:44], v[53:54], v[51:52]
	v_div_fmas_f64 v[43:44], v[43:44], v[47:48], v[53:54]
	s_mov_b64 vcc, s[2:3]
	v_div_fmas_f64 v[45:46], v[45:46], v[49:50], v[57:58]
	v_div_fixup_f64 v[41:42], v[43:44], v[41:42], v[39:40]
	v_div_fixup_f64 v[39:40], v[45:46], v[15:16], 1.0
.LBB8_64:
	v_mul_f64 v[43:44], v[7:8], v[7:8]
	s_waitcnt lgkmcnt(3)
	v_fma_f64 v[5:6], -v[5:6], v[35:36], v[9:10]
	v_mul_f64 v[9:10], v[33:34], v[31:32]
	v_fma_f64 v[11:12], -v[35:36], v[35:36], v[11:12]
	s_mov_b32 s2, 0
	s_mov_b32 s3, 0xc0080000
	v_add_f64 v[17:18], v[17:18], s[2:3]
	s_mov_b32 s2, 0x812dea11
	s_mov_b32 s3, 0x3d719799
	v_fma_f64 v[5:6], -v[7:8], v[43:44], v[5:6]
	v_fma_f64 v[7:8], v[35:36], v[29:30], v[9:10]
	v_mul_f64 v[29:30], v[39:40], v[41:42]
	v_mov_b32_e32 v1, 0x848
	v_fma_f64 v[9:10], -v[23:24], v[27:28], v[5:6]
	v_add_f64 v[33:34], v[43:44], -v[7:8]
	s_waitcnt lgkmcnt(2)
	v_fma_f64 v[23:24], -v[25:26], v[25:26], v[23:24]
	v_mul_f64 v[13:14], v[13:14], v[29:30]
	v_fma_f64 v[9:10], -v[19:20], v[7:8], v[9:10]
	v_add_f64 v[19:20], v[19:20], -v[25:26]
	v_fma_f64 v[9:10], v[7:8], v[37:38], v[9:10]
	v_mul_f64 v[37:38], v[25:26], v[25:26]
	v_mul_f64 v[31:32], v[9:10], v[29:30]
	v_fma_f64 v[5:6], -v[25:26], v[37:38], v[5:6]
	v_mul_f64 v[9:10], v[39:40], v[31:32]
	v_fma_f64 v[35:36], v[33:34], v[29:30], v[9:10]
	v_fma_f64 v[9:10], -v[43:44], v[43:44], v[11:12]
	v_fma_f64 v[11:12], v[27:28], v[35:36], -v[7:8]
	v_fma_f64 v[7:8], -v[37:38], v[37:38], v[9:10]
	v_add_f64 v[9:10], v[35:36], v[35:36]
	v_add_f64 v[27:28], v[11:12], v[11:12]
	v_fma_f64 v[5:6], -v[5:6], v[9:10], v[7:8]
	v_mul_f64 v[9:10], v[9:10], v[11:12]
	v_fma_f64 v[7:8], v[35:36], v[35:36], v[27:28]
	v_fma_f64 v[5:6], v[23:24], v[7:8], v[5:6]
	v_mul_f64 v[7:8], v[17:18], v[11:12]
	v_add_f64 v[17:18], -v[41:42], 1.0
	v_fma_f64 v[5:6], -v[19:20], v[9:10], v[5:6]
	v_fma_f64 v[39:40], v[21:22], v[17:18], -v[13:14]
	v_fma_f64 v[31:32], v[33:34], v[17:18], -v[31:32]
	v_fma_f64 v[9:10], v[11:12], v[7:8], v[5:6]
	v_fma_f64 v[5:6], -v[25:26], v[35:36], v[37:38]
	ds_write2_b64 v1, v[39:40], v[31:32] offset1:1
	v_cmp_lt_f64_e64 s[2:3], |v[9:10]|, s[2:3]
	v_add_f64 v[11:12], v[5:6], v[11:12]
	v_mov_b32_e32 v5, 0
	v_mov_b32_e32 v6, 0
	s_and_b64 vcc, exec, s[2:3]
	s_cbranch_vccnz .LBB8_70
; %bb.65:
	v_fma_f64 v[5:6], v[11:12], v[11:12], v[9:10]
	s_mov_b32 s2, 0
	s_brev_b32 s3, 8
	v_mov_b32_e32 v1, 0x260
	s_mov_b64 s[4:5], 0
	v_cmp_gt_f64_e32 vcc, s[2:3], v[5:6]
	s_and_b64 s[2:3], vcc, exec
	s_cselect_b32 s2, 0x100, 0
	v_ldexp_f64 v[5:6], v[5:6], s2
	s_cselect_b32 s2, 0xffffff80, 0
	v_cmp_nge_f64_e32 vcc, 0, v[11:12]
	v_rsq_f64_e32 v[13:14], v[5:6]
	s_and_b64 vcc, exec, vcc
	v_mul_f64 v[15:16], v[5:6], v[13:14]
	v_mul_f64 v[13:14], v[13:14], 0.5
	v_fma_f64 v[17:18], -v[13:14], v[15:16], 0.5
	v_fma_f64 v[15:16], v[15:16], v[17:18], v[15:16]
	v_fma_f64 v[13:14], v[13:14], v[17:18], v[13:14]
	v_fma_f64 v[17:18], -v[15:16], v[15:16], v[5:6]
	v_fma_f64 v[15:16], v[17:18], v[13:14], v[15:16]
	v_fma_f64 v[17:18], -v[15:16], v[15:16], v[5:6]
	v_fma_f64 v[13:14], v[17:18], v[13:14], v[15:16]
	v_ldexp_f64 v[13:14], v[13:14], s2
	v_cmp_class_f64_e64 s[2:3], v[5:6], v1
	v_cndmask_b32_e64 v6, v14, v6, s[2:3]
	v_cndmask_b32_e64 v5, v13, v5, s[2:3]
	s_cbranch_vccnz .LBB8_67
; %bb.66:
	v_add_f64 v[15:16], v[11:12], -v[5:6]
	s_andn2_b64 vcc, exec, s[4:5]
	s_cbranch_vccz .LBB8_68
	s_branch .LBB8_69
.LBB8_67:
                                        ; implicit-def: $vgpr15_vgpr16
.LBB8_68:
	v_add_f64 v[5:6], v[11:12], v[5:6]
	v_div_scale_f64 v[13:14], s[2:3], v[5:6], v[5:6], -v[9:10]
	v_div_scale_f64 v[19:20], vcc, -v[9:10], v[5:6], -v[9:10]
	v_rcp_f64_e32 v[15:16], v[13:14]
	v_fma_f64 v[17:18], -v[13:14], v[15:16], 1.0
	v_fma_f64 v[15:16], v[15:16], v[17:18], v[15:16]
	v_fma_f64 v[17:18], -v[13:14], v[15:16], 1.0
	v_fma_f64 v[15:16], v[15:16], v[17:18], v[15:16]
	v_mul_f64 v[17:18], v[19:20], v[15:16]
	v_fma_f64 v[13:14], -v[13:14], v[17:18], v[19:20]
	v_div_fmas_f64 v[13:14], v[13:14], v[15:16], v[17:18]
	v_div_fixup_f64 v[15:16], v[13:14], v[5:6], -v[9:10]
.LBB8_69:
	v_mul_f64 v[5:6], v[15:16], v[15:16]
	v_fma_f64 v[13:14], v[15:16], v[15:16], v[9:10]
	v_add_f64 v[5:6], v[5:6], v[5:6]
	v_div_scale_f64 v[17:18], s[2:3], v[13:14], v[13:14], v[5:6]
	v_div_scale_f64 v[23:24], vcc, v[5:6], v[13:14], v[5:6]
	v_rcp_f64_e32 v[19:20], v[17:18]
	v_fma_f64 v[21:22], -v[17:18], v[19:20], 1.0
	v_fma_f64 v[19:20], v[19:20], v[21:22], v[19:20]
	v_fma_f64 v[21:22], -v[17:18], v[19:20], 1.0
	v_fma_f64 v[19:20], v[19:20], v[21:22], v[19:20]
	v_mul_f64 v[21:22], v[23:24], v[19:20]
	v_fma_f64 v[17:18], -v[17:18], v[21:22], v[23:24]
	v_div_fmas_f64 v[17:18], v[17:18], v[19:20], v[21:22]
	v_div_fixup_f64 v[5:6], v[17:18], v[13:14], v[5:6]
.LBB8_70:
	buffer_load_dword v1, off, s[28:31], 0 offset:24 ; 4-byte Folded Reload
	buffer_load_dword v2, off, s[28:31], 0 offset:28 ; 4-byte Folded Reload
	;; [unrolled: 1-line block ×6, first 2 shown]
	v_mul_f64 v[13:14], v[39:40], v[31:32]
	s_mov_b32 s4, 0
	s_brev_b32 s5, 8
	buffer_store_dword v31, off, s[28:31], 0 offset:56 ; 4-byte Folded Spill
	s_nop 0
	buffer_store_dword v32, off, s[28:31], 0 offset:60 ; 4-byte Folded Spill
	buffer_store_dword v39, off, s[28:31], 0 offset:48 ; 4-byte Folded Spill
	s_nop 0
	buffer_store_dword v40, off, s[28:31], 0 offset:52 ; 4-byte Folded Spill
	v_mov_b32_e32 v63, 0x260
	s_mov_b32 s16, 0x812dea11
	s_mov_b32 s17, 0x3d719799
	;; [unrolled: 1-line block ×3, first 2 shown]
	s_waitcnt vmcnt(6)
	v_mul_f64 v[55:56], v[1:2], v[3:4]
	s_waitcnt vmcnt(4)
	v_mul_f64 v[35:36], v[1:2], v[7:8]
	v_fma_f64 v[37:38], v[3:4], v[7:8], v[13:14]
	v_mul_f64 v[17:18], v[55:56], v[55:56]
	v_fma_f64 v[13:14], v[35:36], v[35:36], v[17:18]
	v_div_scale_f64 v[17:18], s[2:3], v[15:16], v[15:16], v[5:6]
	v_fma_f64 v[13:14], v[37:38], v[37:38], v[13:14]
	v_add_f64 v[13:14], v[13:14], v[13:14]
	v_rcp_f64_e32 v[19:20], v[17:18]
	v_cmp_gt_f64_e32 vcc, s[4:5], v[13:14]
	s_and_b64 s[2:3], vcc, exec
	s_cselect_b32 s2, 0x100, 0
	v_ldexp_f64 v[13:14], v[13:14], s2
	v_fma_f64 v[21:22], -v[17:18], v[19:20], 1.0
	s_cselect_b32 s2, 0xffffff80, 0
	v_rsq_f64_e32 v[23:24], v[13:14]
	v_fma_f64 v[19:20], v[19:20], v[21:22], v[19:20]
	v_div_scale_f64 v[21:22], vcc, v[5:6], v[15:16], v[5:6]
	v_fma_f64 v[25:26], -v[17:18], v[19:20], 1.0
	v_mul_f64 v[27:28], v[13:14], v[23:24]
	v_mul_f64 v[23:24], v[23:24], 0.5
	v_fma_f64 v[19:20], v[19:20], v[25:26], v[19:20]
	v_fma_f64 v[25:26], -v[23:24], v[27:28], 0.5
	v_mul_f64 v[29:30], v[21:22], v[19:20]
	v_fma_f64 v[27:28], v[27:28], v[25:26], v[27:28]
	v_fma_f64 v[17:18], -v[17:18], v[29:30], v[21:22]
	v_fma_f64 v[21:22], v[23:24], v[25:26], v[23:24]
	v_mov_b32_e32 v25, 0
	v_mov_b32_e32 v26, 0x3ff00000
	v_fma_f64 v[23:24], -v[27:28], v[27:28], v[13:14]
	v_div_fmas_f64 v[17:18], v[17:18], v[19:20], v[29:30]
	v_cmp_class_f64_e32 vcc, v[13:14], v63
	v_mul_f64 v[29:30], v[1:2], v[1:2]
	v_mov_b32_e32 v1, 0
	v_fma_f64 v[19:20], v[23:24], v[21:22], v[27:28]
	v_fma_f64 v[23:24], -v[19:20], v[19:20], v[13:14]
	v_div_fixup_f64 v[15:16], v[17:18], v[15:16], v[5:6]
	v_add_f64 v[5:6], -v[5:6], 1.0
	v_fma_f64 v[17:18], v[23:24], v[21:22], v[19:20]
	v_mul_f64 v[19:20], v[31:32], v[31:32]
	v_mul_f64 v[9:10], v[9:10], v[15:16]
	v_mov_b32_e32 v21, 0
	v_mov_b32_e32 v22, 0
	v_ldexp_f64 v[15:16], v[17:18], s2
	v_fma_f64 v[19:20], v[7:8], v[7:8], v[19:20]
	v_fma_f64 v[7:8], v[11:12], v[5:6], -v[9:10]
	v_mul_f64 v[17:18], v[39:40], v[39:40]
	v_mov_b32_e32 v9, 0
	v_mov_b32_e32 v11, 0
	;; [unrolled: 1-line block ×4, first 2 shown]
	v_cndmask_b32_e32 v6, v16, v14, vcc
	v_cndmask_b32_e32 v5, v15, v13, vcc
	v_fma_f64 v[15:16], v[7:8], v[7:8], v[19:20]
	buffer_store_dword v7, off, s[28:31], 0 offset:64 ; 4-byte Folded Spill
	s_nop 0
	buffer_store_dword v8, off, s[28:31], 0 offset:68 ; 4-byte Folded Spill
	v_cmp_nle_f64_e32 vcc, s[16:17], v[5:6]
	v_fma_f64 v[49:50], v[3:4], v[3:4], v[17:18]
	ds_write_b64 v1, v[7:8] offset:2136
	s_cbranch_vccnz .LBB8_80
; %bb.71:
	v_mov_b32_e32 v1, 0
	v_mov_b32_e32 v2, 0
	buffer_store_dword v1, off, s[28:31], 0 offset:8 ; 4-byte Folded Spill
	s_nop 0
	buffer_store_dword v2, off, s[28:31], 0 offset:12 ; 4-byte Folded Spill
	v_mov_b32_e32 v27, 0
	v_mov_b32_e32 v1, 0
	;; [unrolled: 1-line block ×8, first 2 shown]
	s_mov_b32 s7, 0xbff00000
	s_mov_b32 s20, 0
	buffer_store_dword v1, off, s[28:31], 0 offset:16 ; 4-byte Folded Spill
	s_nop 0
	buffer_store_dword v2, off, s[28:31], 0 offset:20 ; 4-byte Folded Spill
.LBB8_72:                               ; =>This Inner Loop Header: Depth=1
	v_cmp_eq_f64_e32 vcc, 0, v[55:56]
	v_mov_b32_e32 v41, 0
	v_mov_b32_e32 v43, 0
	;; [unrolled: 1-line block ×4, first 2 shown]
	s_cbranch_vccnz .LBB8_74
; %bb.73:                               ;   in Loop: Header=BB8_72 Depth=1
	v_add_f64 v[5:6], v[49:50], -v[29:30]
	v_add_f64 v[13:14], v[55:56], v[55:56]
	v_div_scale_f64 v[39:40], s[2:3], v[13:14], v[13:14], v[5:6]
	v_rcp_f64_e32 v[41:42], v[39:40]
	v_fma_f64 v[43:44], -v[39:40], v[41:42], 1.0
	v_fma_f64 v[41:42], v[41:42], v[43:44], v[41:42]
	v_div_scale_f64 v[43:44], vcc, v[5:6], v[13:14], v[5:6]
	v_fma_f64 v[45:46], -v[39:40], v[41:42], 1.0
	v_fma_f64 v[41:42], v[41:42], v[45:46], v[41:42]
	v_mul_f64 v[45:46], v[43:44], v[41:42]
	v_fma_f64 v[39:40], -v[39:40], v[45:46], v[43:44]
	v_div_fmas_f64 v[39:40], v[39:40], v[41:42], v[45:46]
	v_div_fixup_f64 v[5:6], v[39:40], v[13:14], v[5:6]
	v_fma_f64 v[13:14], v[5:6], v[5:6], 1.0
	v_cmp_gt_f64_e32 vcc, 0, v[5:6]
	v_cmp_gt_f64_e64 s[2:3], s[4:5], v[13:14]
	s_and_b64 s[22:23], vcc, exec
	s_cselect_b32 s19, s7, 0x3ff00000
	s_and_b64 s[2:3], s[2:3], exec
	s_cselect_b32 s2, 0x100, 0
	v_ldexp_f64 v[13:14], v[13:14], s2
	s_cselect_b32 s2, 0xffffff80, 0
	v_rsq_f64_e32 v[39:40], v[13:14]
	v_cmp_class_f64_e32 vcc, v[13:14], v63
	v_mul_f64 v[41:42], v[13:14], v[39:40]
	v_mul_f64 v[39:40], v[39:40], 0.5
	v_fma_f64 v[43:44], -v[39:40], v[41:42], 0.5
	v_fma_f64 v[41:42], v[41:42], v[43:44], v[41:42]
	v_fma_f64 v[39:40], v[39:40], v[43:44], v[39:40]
	v_fma_f64 v[43:44], -v[41:42], v[41:42], v[13:14]
	v_fma_f64 v[41:42], v[43:44], v[39:40], v[41:42]
	v_fma_f64 v[43:44], -v[41:42], v[41:42], v[13:14]
	v_fma_f64 v[39:40], v[43:44], v[39:40], v[41:42]
	v_ldexp_f64 v[39:40], v[39:40], s2
	v_cndmask_b32_e32 v14, v40, v14, vcc
	v_cndmask_b32_e32 v13, v39, v13, vcc
	v_fma_f64 v[5:6], v[5:6], s[18:19], v[13:14]
	v_div_scale_f64 v[13:14], s[2:3], v[5:6], v[5:6], s[18:19]
	v_rcp_f64_e32 v[39:40], v[13:14]
	v_fma_f64 v[41:42], -v[13:14], v[39:40], 1.0
	v_fma_f64 v[39:40], v[39:40], v[41:42], v[39:40]
	v_div_scale_f64 v[41:42], vcc, s[18:19], v[5:6], s[18:19]
	v_fma_f64 v[43:44], -v[13:14], v[39:40], 1.0
	v_fma_f64 v[39:40], v[39:40], v[43:44], v[39:40]
	v_mul_f64 v[43:44], v[41:42], v[39:40]
	v_fma_f64 v[13:14], -v[13:14], v[43:44], v[41:42]
	v_div_fmas_f64 v[13:14], v[13:14], v[39:40], v[43:44]
	v_div_fixup_f64 v[5:6], v[13:14], v[5:6], s[18:19]
	v_fma_f64 v[13:14], v[5:6], v[5:6], 1.0
	v_cmp_gt_f64_e32 vcc, s[4:5], v[13:14]
	s_and_b64 s[2:3], vcc, exec
	s_cselect_b32 s2, 0x100, 0
	v_ldexp_f64 v[13:14], v[13:14], s2
	s_cselect_b32 s2, 0xffffff80, 0
	v_rsq_f64_e32 v[39:40], v[13:14]
	v_cmp_class_f64_e32 vcc, v[13:14], v63
	v_mul_f64 v[41:42], v[13:14], v[39:40]
	v_mul_f64 v[39:40], v[39:40], 0.5
	v_fma_f64 v[43:44], -v[39:40], v[41:42], 0.5
	v_fma_f64 v[41:42], v[41:42], v[43:44], v[41:42]
	v_fma_f64 v[39:40], v[39:40], v[43:44], v[39:40]
	v_fma_f64 v[43:44], -v[41:42], v[41:42], v[13:14]
	v_fma_f64 v[41:42], v[43:44], v[39:40], v[41:42]
	v_fma_f64 v[43:44], -v[41:42], v[41:42], v[13:14]
	v_fma_f64 v[39:40], v[43:44], v[39:40], v[41:42]
	v_ldexp_f64 v[39:40], v[39:40], s2
	v_cndmask_b32_e32 v14, v40, v14, vcc
	v_cndmask_b32_e32 v13, v39, v13, vcc
	v_div_scale_f64 v[39:40], s[2:3], v[13:14], v[13:14], 1.0
	v_div_scale_f64 v[45:46], vcc, 1.0, v[13:14], 1.0
	v_rcp_f64_e32 v[41:42], v[39:40]
	v_fma_f64 v[43:44], -v[39:40], v[41:42], 1.0
	v_fma_f64 v[41:42], v[41:42], v[43:44], v[41:42]
	v_fma_f64 v[43:44], -v[39:40], v[41:42], 1.0
	v_fma_f64 v[41:42], v[41:42], v[43:44], v[41:42]
	v_mul_f64 v[43:44], v[45:46], v[41:42]
	v_fma_f64 v[39:40], -v[39:40], v[43:44], v[45:46]
	v_div_fmas_f64 v[39:40], v[39:40], v[41:42], v[43:44]
	v_div_fixup_f64 v[43:44], v[39:40], v[13:14], 1.0
	v_mul_f64 v[41:42], v[5:6], v[43:44]
.LBB8_74:                               ;   in Loop: Header=BB8_72 Depth=1
	v_mul_f64 v[57:58], v[55:56], v[43:44]
	v_mul_f64 v[5:6], v[37:38], v[41:42]
	;; [unrolled: 1-line block ×3, first 2 shown]
	v_mov_b32_e32 v45, 0
	v_mov_b32_e32 v47, 0
	;; [unrolled: 1-line block ×5, first 2 shown]
	v_fma_f64 v[39:40], -v[49:50], v[41:42], v[57:58]
	v_fma_f64 v[13:14], v[35:36], v[43:44], -v[5:6]
	v_fma_f64 v[5:6], v[29:30], v[43:44], -v[55:56]
	v_mov_b32_e32 v48, 0x3ff00000
	v_mov_b32_e32 v52, 0
	;; [unrolled: 1-line block ×3, first 2 shown]
	v_mul_f64 v[39:40], v[41:42], v[39:40]
	v_cmp_eq_f64_e32 vcc, 0, v[13:14]
	v_fma_f64 v[39:40], v[43:44], v[5:6], -v[39:40]
	s_cbranch_vccnz .LBB8_76
; %bb.75:                               ;   in Loop: Header=BB8_72 Depth=1
	v_add_f64 v[5:6], v[15:16], -v[39:40]
	v_add_f64 v[51:52], v[13:14], v[13:14]
	v_div_scale_f64 v[53:54], s[2:3], v[51:52], v[51:52], v[5:6]
	v_rcp_f64_e32 v[59:60], v[53:54]
	v_fma_f64 v[61:62], -v[53:54], v[59:60], 1.0
	v_fma_f64 v[59:60], v[59:60], v[61:62], v[59:60]
	v_fma_f64 v[61:62], -v[53:54], v[59:60], 1.0
	v_fma_f64 v[59:60], v[59:60], v[61:62], v[59:60]
	v_div_scale_f64 v[61:62], vcc, v[5:6], v[51:52], v[5:6]
	v_mul_f64 v[7:8], v[61:62], v[59:60]
	v_fma_f64 v[53:54], -v[53:54], v[7:8], v[61:62]
	s_nop 1
	v_div_fmas_f64 v[7:8], v[53:54], v[59:60], v[7:8]
	v_div_fixup_f64 v[5:6], v[7:8], v[51:52], v[5:6]
	v_cmp_gt_f64_e32 vcc, 0, v[5:6]
	v_fma_f64 v[7:8], v[5:6], v[5:6], 1.0
	s_and_b64 s[2:3], vcc, exec
	v_cmp_gt_f64_e32 vcc, s[4:5], v[7:8]
	s_cselect_b32 s19, s7, 0x3ff00000
	s_and_b64 s[2:3], vcc, exec
	s_cselect_b32 s2, 0x100, 0
	v_ldexp_f64 v[7:8], v[7:8], s2
	s_cselect_b32 s2, 0xffffff80, 0
	v_rsq_f64_e32 v[51:52], v[7:8]
	v_cmp_class_f64_e32 vcc, v[7:8], v63
	v_mul_f64 v[53:54], v[7:8], v[51:52]
	v_mul_f64 v[51:52], v[51:52], 0.5
	v_fma_f64 v[59:60], -v[51:52], v[53:54], 0.5
	v_fma_f64 v[53:54], v[53:54], v[59:60], v[53:54]
	v_fma_f64 v[51:52], v[51:52], v[59:60], v[51:52]
	v_fma_f64 v[61:62], -v[53:54], v[53:54], v[7:8]
	v_fma_f64 v[53:54], v[61:62], v[51:52], v[53:54]
	v_fma_f64 v[59:60], -v[53:54], v[53:54], v[7:8]
	v_fma_f64 v[51:52], v[59:60], v[51:52], v[53:54]
	v_ldexp_f64 v[51:52], v[51:52], s2
	v_cndmask_b32_e32 v8, v52, v8, vcc
	v_cndmask_b32_e32 v7, v51, v7, vcc
	v_fma_f64 v[5:6], v[5:6], s[18:19], v[7:8]
	v_div_scale_f64 v[7:8], s[2:3], v[5:6], v[5:6], s[18:19]
	v_rcp_f64_e32 v[51:52], v[7:8]
	v_fma_f64 v[53:54], -v[7:8], v[51:52], 1.0
	v_fma_f64 v[51:52], v[51:52], v[53:54], v[51:52]
	v_fma_f64 v[53:54], -v[7:8], v[51:52], 1.0
	v_fma_f64 v[51:52], v[51:52], v[53:54], v[51:52]
	v_div_scale_f64 v[53:54], vcc, s[18:19], v[5:6], s[18:19]
	v_mul_f64 v[59:60], v[53:54], v[51:52]
	v_fma_f64 v[7:8], -v[7:8], v[59:60], v[53:54]
	s_nop 1
	v_div_fmas_f64 v[7:8], v[7:8], v[51:52], v[59:60]
	v_div_fixup_f64 v[5:6], v[7:8], v[5:6], s[18:19]
	v_fma_f64 v[7:8], v[5:6], v[5:6], 1.0
	v_cmp_gt_f64_e32 vcc, s[4:5], v[7:8]
	s_and_b64 s[2:3], vcc, exec
	s_cselect_b32 s2, 0x100, 0
	v_ldexp_f64 v[7:8], v[7:8], s2
	s_cselect_b32 s2, 0xffffff80, 0
	v_rsq_f64_e32 v[51:52], v[7:8]
	v_cmp_class_f64_e32 vcc, v[7:8], v63
	v_mul_f64 v[53:54], v[7:8], v[51:52]
	v_mul_f64 v[51:52], v[51:52], 0.5
	v_fma_f64 v[59:60], -v[51:52], v[53:54], 0.5
	v_fma_f64 v[53:54], v[53:54], v[59:60], v[53:54]
	v_fma_f64 v[51:52], v[51:52], v[59:60], v[51:52]
	v_fma_f64 v[61:62], -v[53:54], v[53:54], v[7:8]
	v_fma_f64 v[53:54], v[61:62], v[51:52], v[53:54]
	v_fma_f64 v[59:60], -v[53:54], v[53:54], v[7:8]
	v_fma_f64 v[51:52], v[59:60], v[51:52], v[53:54]
	v_ldexp_f64 v[51:52], v[51:52], s2
	v_cndmask_b32_e32 v8, v52, v8, vcc
	v_cndmask_b32_e32 v7, v51, v7, vcc
	v_div_scale_f64 v[51:52], s[2:3], v[7:8], v[7:8], 1.0
	v_rcp_f64_e32 v[53:54], v[51:52]
	v_fma_f64 v[59:60], -v[51:52], v[53:54], 1.0
	v_fma_f64 v[53:54], v[53:54], v[59:60], v[53:54]
	v_fma_f64 v[59:60], -v[51:52], v[53:54], 1.0
	v_fma_f64 v[53:54], v[53:54], v[59:60], v[53:54]
	v_div_scale_f64 v[59:60], vcc, 1.0, v[7:8], 1.0
	v_mul_f64 v[61:62], v[59:60], v[53:54]
	v_fma_f64 v[51:52], -v[51:52], v[61:62], v[59:60]
	s_nop 1
	v_div_fmas_f64 v[51:52], v[51:52], v[53:54], v[61:62]
	v_div_fixup_f64 v[53:54], v[51:52], v[7:8], 1.0
	v_mul_f64 v[51:52], v[5:6], v[53:54]
.LBB8_76:                               ;   in Loop: Header=BB8_72 Depth=1
	v_fma_f64 v[7:8], v[49:50], v[43:44], v[55:56]
	v_fma_f64 v[5:6], v[29:30], v[41:42], v[57:58]
	v_mul_f64 v[49:50], v[13:14], v[51:52]
	v_mul_f64 v[57:58], v[13:14], v[53:54]
	v_mov_b32_e32 v34, v12
	v_mov_b32_e32 v33, v11
	buffer_store_dword v9, off, s[28:31], 0 ; 4-byte Folded Spill
	s_nop 0
	buffer_store_dword v10, off, s[28:31], 0 offset:4 ; 4-byte Folded Spill
	v_mul_f64 v[29:30], v[41:42], v[7:8]
	v_mul_f64 v[7:8], v[43:44], v[7:8]
	v_fma_f64 v[13:14], v[15:16], v[53:54], v[49:50]
	v_fma_f64 v[61:62], v[39:40], v[51:52], v[57:58]
	v_fma_f64 v[55:56], v[43:44], v[5:6], -v[29:30]
	v_fma_f64 v[29:30], v[41:42], v[5:6], v[7:8]
	v_mul_f64 v[5:6], v[37:38], v[43:44]
	v_fma_f64 v[37:38], v[35:36], v[41:42], v[5:6]
	v_mul_f64 v[5:6], v[37:38], v[53:54]
	;; [unrolled: 2-line block ×3, first 2 shown]
	v_cmp_eq_f64_e32 vcc, 0, v[35:36]
	v_fma_f64 v[59:60], v[51:52], v[61:62], v[5:6]
	s_cbranch_vccnz .LBB8_78
; %bb.77:                               ;   in Loop: Header=BB8_72 Depth=1
	v_add_f64 v[5:6], v[59:60], -v[29:30]
	v_add_f64 v[7:8], v[35:36], v[35:36]
	v_div_scale_f64 v[45:46], s[2:3], v[7:8], v[7:8], v[5:6]
	v_rcp_f64_e32 v[47:48], v[45:46]
	v_fma_f64 v[9:10], -v[45:46], v[47:48], 1.0
	v_fma_f64 v[9:10], v[47:48], v[9:10], v[47:48]
	v_fma_f64 v[47:48], -v[45:46], v[9:10], 1.0
	v_fma_f64 v[9:10], v[9:10], v[47:48], v[9:10]
	v_div_scale_f64 v[47:48], vcc, v[5:6], v[7:8], v[5:6]
	v_mul_f64 v[1:2], v[47:48], v[9:10]
	v_fma_f64 v[3:4], -v[45:46], v[1:2], v[47:48]
	s_nop 1
	v_div_fmas_f64 v[1:2], v[3:4], v[9:10], v[1:2]
	v_div_fixup_f64 v[1:2], v[1:2], v[7:8], v[5:6]
	v_cmp_gt_f64_e32 vcc, 0, v[1:2]
	v_fma_f64 v[3:4], v[1:2], v[1:2], 1.0
	s_and_b64 s[2:3], vcc, exec
	v_cmp_gt_f64_e32 vcc, s[4:5], v[3:4]
	s_cselect_b32 s19, s7, 0x3ff00000
	s_and_b64 s[2:3], vcc, exec
	s_cselect_b32 s2, 0x100, 0
	v_ldexp_f64 v[3:4], v[3:4], s2
	s_cselect_b32 s2, 0xffffff80, 0
	v_rsq_f64_e32 v[5:6], v[3:4]
	v_cmp_class_f64_e32 vcc, v[3:4], v63
	v_mul_f64 v[7:8], v[3:4], v[5:6]
	v_mul_f64 v[5:6], v[5:6], 0.5
	v_fma_f64 v[9:10], -v[5:6], v[7:8], 0.5
	v_fma_f64 v[7:8], v[7:8], v[9:10], v[7:8]
	v_fma_f64 v[5:6], v[5:6], v[9:10], v[5:6]
	v_fma_f64 v[45:46], -v[7:8], v[7:8], v[3:4]
	v_fma_f64 v[7:8], v[45:46], v[5:6], v[7:8]
	v_fma_f64 v[9:10], -v[7:8], v[7:8], v[3:4]
	v_fma_f64 v[5:6], v[9:10], v[5:6], v[7:8]
	v_ldexp_f64 v[5:6], v[5:6], s2
	v_cndmask_b32_e32 v4, v6, v4, vcc
	v_cndmask_b32_e32 v3, v5, v3, vcc
	v_fma_f64 v[1:2], v[1:2], s[18:19], v[3:4]
	v_div_scale_f64 v[3:4], s[2:3], v[1:2], v[1:2], s[18:19]
	v_rcp_f64_e32 v[5:6], v[3:4]
	v_fma_f64 v[7:8], -v[3:4], v[5:6], 1.0
	v_fma_f64 v[5:6], v[5:6], v[7:8], v[5:6]
	v_fma_f64 v[7:8], -v[3:4], v[5:6], 1.0
	v_fma_f64 v[5:6], v[5:6], v[7:8], v[5:6]
	v_div_scale_f64 v[7:8], vcc, s[18:19], v[1:2], s[18:19]
	v_mul_f64 v[9:10], v[7:8], v[5:6]
	v_fma_f64 v[3:4], -v[3:4], v[9:10], v[7:8]
	s_nop 1
	v_div_fmas_f64 v[3:4], v[3:4], v[5:6], v[9:10]
	v_div_fixup_f64 v[1:2], v[3:4], v[1:2], s[18:19]
	v_fma_f64 v[3:4], v[1:2], v[1:2], 1.0
	v_cmp_gt_f64_e32 vcc, s[4:5], v[3:4]
	s_and_b64 s[2:3], vcc, exec
	s_cselect_b32 s2, 0x100, 0
	v_ldexp_f64 v[3:4], v[3:4], s2
	s_cselect_b32 s2, 0xffffff80, 0
	v_rsq_f64_e32 v[5:6], v[3:4]
	v_cmp_class_f64_e32 vcc, v[3:4], v63
	v_mul_f64 v[7:8], v[3:4], v[5:6]
	v_mul_f64 v[5:6], v[5:6], 0.5
	v_fma_f64 v[9:10], -v[5:6], v[7:8], 0.5
	v_fma_f64 v[7:8], v[7:8], v[9:10], v[7:8]
	v_fma_f64 v[5:6], v[5:6], v[9:10], v[5:6]
	v_fma_f64 v[45:46], -v[7:8], v[7:8], v[3:4]
	v_fma_f64 v[7:8], v[45:46], v[5:6], v[7:8]
	v_fma_f64 v[9:10], -v[7:8], v[7:8], v[3:4]
	v_fma_f64 v[5:6], v[9:10], v[5:6], v[7:8]
	v_ldexp_f64 v[5:6], v[5:6], s2
	v_cndmask_b32_e32 v4, v6, v4, vcc
	v_cndmask_b32_e32 v3, v5, v3, vcc
	v_div_scale_f64 v[5:6], s[2:3], v[3:4], v[3:4], 1.0
	v_rcp_f64_e32 v[7:8], v[5:6]
	v_fma_f64 v[9:10], -v[5:6], v[7:8], 1.0
	v_fma_f64 v[7:8], v[7:8], v[9:10], v[7:8]
	v_fma_f64 v[9:10], -v[5:6], v[7:8], 1.0
	v_fma_f64 v[7:8], v[7:8], v[9:10], v[7:8]
	v_div_scale_f64 v[9:10], vcc, 1.0, v[3:4], 1.0
	v_mul_f64 v[45:46], v[9:10], v[7:8]
	v_fma_f64 v[5:6], -v[5:6], v[45:46], v[9:10]
	s_nop 1
	v_div_fmas_f64 v[5:6], v[5:6], v[7:8], v[45:46]
	v_div_fixup_f64 v[47:48], v[5:6], v[3:4], 1.0
	v_mul_f64 v[45:46], v[1:2], v[47:48]
.LBB8_78:                               ;   in Loop: Header=BB8_72 Depth=1
	v_mul_f64 v[5:6], v[27:28], v[41:42]
	v_mul_f64 v[7:8], v[25:26], v[41:42]
	;; [unrolled: 1-line block ×8, first 2 shown]
	v_fma_f64 v[19:20], v[31:32], v[43:44], -v[5:6]
	v_mov_b32_e32 v5, v23
	v_fma_f64 v[27:28], v[23:24], v[43:44], -v[7:8]
	v_mov_b32_e32 v6, v24
	buffer_load_dword v23, off, s[28:31], 0 offset:16 ; 4-byte Folded Reload
	buffer_load_dword v24, off, s[28:31], 0 offset:20 ; 4-byte Folded Reload
	v_fma_f64 v[1:2], v[53:54], v[61:62], -v[1:2]
	v_mul_f64 v[61:62], v[35:36], v[45:46]
	v_fma_f64 v[3:4], v[55:56], v[53:54], -v[3:4]
	v_mul_f64 v[11:12], v[21:22], v[43:44]
	v_fma_f64 v[21:22], v[5:6], v[41:42], v[37:38]
	v_fma_f64 v[5:6], v[29:30], v[45:46], v[17:18]
	s_add_i32 s2, s20, 1
	v_fma_f64 v[13:14], v[31:32], v[41:42], v[13:14]
	v_mul_f64 v[55:56], v[1:2], v[45:46]
	v_fma_f64 v[7:8], v[59:60], v[47:48], v[61:62]
	v_mul_f64 v[1:2], v[1:2], v[47:48]
	v_fma_f64 v[17:18], -v[59:60], v[45:46], v[17:18]
	v_fma_f64 v[55:56], v[3:4], v[47:48], -v[55:56]
	v_fma_f64 v[35:36], v[3:4], v[45:46], v[1:2]
	v_mul_f64 v[1:2], v[55:56], v[55:56]
	v_fma_f64 v[1:2], v[35:36], v[35:36], v[1:2]
	s_waitcnt vmcnt(0)
	v_fma_f64 v[25:26], v[23:24], v[43:44], -v[9:10]
	v_mul_f64 v[9:10], v[45:46], v[7:8]
	v_mul_f64 v[7:8], v[47:48], v[7:8]
	v_fma_f64 v[37:38], v[47:48], v[5:6], -v[9:10]
	v_fma_f64 v[1:2], v[37:38], v[37:38], v[1:2]
	v_add_f64 v[1:2], v[1:2], v[1:2]
	v_cmp_gt_f64_e32 vcc, s[4:5], v[1:2]
	s_and_b64 s[22:23], vcc, exec
	s_cselect_b32 s3, 0x100, 0
	v_ldexp_f64 v[43:44], v[1:2], s3
	v_fma_f64 v[1:2], v[23:24], v[41:42], v[11:12]
	v_fma_f64 v[23:24], v[39:40], v[53:54], -v[49:50]
	buffer_load_dword v39, off, s[28:31], 0 offset:8 ; 4-byte Folded Reload
	buffer_load_dword v40, off, s[28:31], 0 offset:12 ; 4-byte Folded Reload
	v_fma_f64 v[11:12], -v[15:16], v[51:52], v[57:58]
	v_mul_f64 v[41:42], v[33:34], v[53:54]
	v_fma_f64 v[57:58], v[29:30], v[47:48], -v[61:62]
	s_cselect_b32 s3, 0xffffff80, 0
	v_rsq_f64_e32 v[3:4], v[43:44]
	v_cmp_class_f64_e32 vcc, v[43:44], v63
	s_cmp_lt_u32 s20, 15
	s_cselect_b64 s[20:21], -1, 0
	v_mul_f64 v[11:12], v[51:52], v[11:12]
	v_fma_f64 v[29:30], v[53:54], v[23:24], -v[11:12]
	v_mul_f64 v[11:12], v[45:46], v[17:18]
	v_mul_f64 v[9:10], v[43:44], v[3:4]
	v_mul_f64 v[3:4], v[3:4], 0.5
	v_fma_f64 v[15:16], -v[3:4], v[9:10], 0.5
	v_fma_f64 v[9:10], v[9:10], v[15:16], v[9:10]
	v_fma_f64 v[3:4], v[3:4], v[15:16], v[3:4]
	v_fma_f64 v[15:16], -v[9:10], v[9:10], v[43:44]
	v_fma_f64 v[9:10], v[15:16], v[3:4], v[9:10]
	v_fma_f64 v[59:60], -v[9:10], v[9:10], v[43:44]
	v_fma_f64 v[3:4], v[59:60], v[3:4], v[9:10]
	v_fma_f64 v[9:10], v[27:28], v[51:52], v[41:42]
	v_ldexp_f64 v[3:4], v[3:4], s3
	s_waitcnt vmcnt(0)
	v_mul_f64 v[31:32], v[39:40], v[51:52]
	v_mul_f64 v[15:16], v[39:40], v[53:54]
	;; [unrolled: 1-line block ×3, first 2 shown]
	buffer_load_dword v33, off, s[28:31], 0 ; 4-byte Folded Reload
	buffer_load_dword v34, off, s[28:31], 0 offset:4 ; 4-byte Folded Reload
	v_cndmask_b32_e32 v4, v4, v44, vcc
	v_cndmask_b32_e32 v3, v3, v43, vcc
	v_cmp_le_f64_e32 vcc, s[16:17], v[3:4]
	v_fma_f64 v[17:18], v[19:20], v[51:52], v[15:16]
	v_fma_f64 v[15:16], v[45:46], v[5:6], v[7:8]
	s_and_b64 s[20:21], vcc, s[20:21]
	v_mul_f64 v[5:6], v[17:18], v[45:46]
	v_mul_f64 v[7:8], v[17:18], v[47:48]
	s_andn2_b64 vcc, exec, s[20:21]
	s_waitcnt vmcnt(0)
	v_mul_f64 v[61:62], v[33:34], v[53:54]
	v_mul_f64 v[49:50], v[33:34], v[51:52]
	v_fma_f64 v[33:34], v[19:20], v[53:54], -v[31:32]
	v_fma_f64 v[31:32], v[27:28], v[53:54], -v[39:40]
	;; [unrolled: 1-line block ×3, first 2 shown]
	v_fma_f64 v[39:40], v[13:14], v[45:46], v[7:8]
	v_fma_f64 v[19:20], v[25:26], v[51:52], v[61:62]
	v_fma_f64 v[23:24], v[25:26], v[53:54], -v[49:50]
	v_fma_f64 v[49:50], v[47:48], v[57:58], -v[11:12]
	v_mul_f64 v[11:12], v[9:10], v[45:46]
	v_mul_f64 v[9:10], v[9:10], v[47:48]
	;; [unrolled: 1-line block ×4, first 2 shown]
	v_fma_f64 v[25:26], v[21:22], v[47:48], -v[11:12]
	v_fma_f64 v[11:12], v[21:22], v[45:46], v[9:10]
	v_fma_f64 v[21:22], v[1:2], v[47:48], -v[17:18]
	v_fma_f64 v[9:10], v[1:2], v[45:46], v[19:20]
	s_cbranch_vccnz .LBB8_81
; %bb.79:                               ;   in Loop: Header=BB8_72 Depth=1
	buffer_store_dword v39, off, s[28:31], 0 offset:8 ; 4-byte Folded Spill
	s_nop 0
	buffer_store_dword v40, off, s[28:31], 0 offset:12 ; 4-byte Folded Spill
	buffer_store_dword v23, off, s[28:31], 0 offset:16 ; 4-byte Folded Spill
	s_nop 0
	buffer_store_dword v24, off, s[28:31], 0 offset:20 ; 4-byte Folded Spill
	v_mov_b32_e32 v23, v31
	v_mov_b32_e32 v24, v32
	;; [unrolled: 1-line block ×3, first 2 shown]
	s_mov_b32 s20, s2
	v_mov_b32_e32 v32, v34
	s_branch .LBB8_72
.LBB8_80:
	v_mov_b32_e32 v39, 0
	v_mov_b32_e32 v27, 0
	;; [unrolled: 1-line block ×10, first 2 shown]
.LBB8_81:
	v_cmp_lt_f64_e32 vcc, v[29:30], v[49:50]
	s_cbranch_vccz .LBB8_83
; %bb.82:
	v_mov_b32_e32 v13, v27
	v_mov_b32_e32 v14, v28
	;; [unrolled: 1-line block ×8, first 2 shown]
	v_cmp_nlt_f64_e32 vcc, v[35:36], v[15:16]
	s_cbranch_vccz .LBB8_84
	s_branch .LBB8_85
.LBB8_83:
	v_mov_b32_e32 v13, v33
	v_mov_b32_e32 v14, v34
	;; [unrolled: 1-line block ×16, first 2 shown]
	v_cmp_nlt_f64_e32 vcc, v[35:36], v[15:16]
	s_cbranch_vccnz .LBB8_85
.LBB8_84:
	v_mov_b32_e32 v1, v35
	v_mov_b32_e32 v3, v25
	;; [unrolled: 1-line block ×24, first 2 shown]
.LBB8_85:
	v_cmp_nlt_f64_e32 vcc, v[29:30], v[15:16]
	s_cbranch_vccnz .LBB8_87
; %bb.86:
	v_mov_b32_e32 v5, v15
	v_mov_b32_e32 v6, v16
	;; [unrolled: 1-line block ×8, first 2 shown]
	s_branch .LBB8_88
.LBB8_87:
	v_mov_b32_e32 v5, v29
	v_mov_b32_e32 v6, v30
	;; [unrolled: 1-line block ×16, first 2 shown]
.LBB8_88:
	v_div_scale_f64 v[1:2], s[2:3], v[35:36], v[35:36], 1.0
	v_div_scale_f64 v[3:4], s[2:3], v[5:6], v[5:6], 1.0
	v_div_scale_f64 v[7:8], s[2:3], v[29:30], v[29:30], 1.0
	v_div_scale_f64 v[43:44], s[2:3], 1.0, v[5:6], 1.0
	v_rcp_f64_e32 v[9:10], v[1:2]
	v_rcp_f64_e32 v[11:12], v[3:4]
	;; [unrolled: 1-line block ×3, first 2 shown]
	v_fma_f64 v[37:38], -v[1:2], v[9:10], 1.0
	v_fma_f64 v[39:40], -v[3:4], v[11:12], 1.0
	v_fma_f64 v[9:10], v[9:10], v[37:38], v[9:10]
	v_div_scale_f64 v[37:38], vcc, 1.0, v[35:36], 1.0
	v_fma_f64 v[11:12], v[11:12], v[39:40], v[11:12]
	v_fma_f64 v[39:40], -v[7:8], v[17:18], 1.0
	v_fma_f64 v[41:42], -v[1:2], v[9:10], 1.0
	;; [unrolled: 1-line block ×3, first 2 shown]
	v_fma_f64 v[17:18], v[17:18], v[39:40], v[17:18]
	v_div_scale_f64 v[39:40], s[4:5], 1.0, v[29:30], 1.0
	v_fma_f64 v[9:10], v[9:10], v[41:42], v[9:10]
	v_fma_f64 v[11:12], v[11:12], v[45:46], v[11:12]
	v_fma_f64 v[41:42], -v[7:8], v[17:18], 1.0
	v_mul_f64 v[45:46], v[37:38], v[9:10]
	v_mul_f64 v[47:48], v[43:44], v[11:12]
	v_fma_f64 v[17:18], v[17:18], v[41:42], v[17:18]
	v_fma_f64 v[1:2], -v[1:2], v[45:46], v[37:38]
	v_fma_f64 v[3:4], -v[3:4], v[47:48], v[43:44]
	v_mul_f64 v[37:38], v[39:40], v[17:18]
	v_div_fmas_f64 v[1:2], v[1:2], v[9:10], v[45:46]
	s_mov_b64 vcc, s[2:3]
	v_div_fmas_f64 v[3:4], v[3:4], v[11:12], v[47:48]
	v_fma_f64 v[7:8], -v[7:8], v[37:38], v[39:40]
	s_mov_b64 vcc, s[4:5]
	s_mov_b32 s4, 0x812dea11
	s_mov_b32 s5, 0x3d719799
	v_cmp_nlt_f64_e64 s[2:3], |v[35:36]|, s[4:5]
	v_div_fmas_f64 v[7:8], v[7:8], v[17:18], v[37:38]
	v_cmp_nlt_f64_e64 vcc, |v[5:6]|, s[4:5]
	v_div_fixup_f64 v[1:2], v[1:2], v[35:36], 1.0
	v_div_fixup_f64 v[3:4], v[3:4], v[5:6], 1.0
	v_cndmask_b32_e64 v2, 0, v2, s[2:3]
	v_cndmask_b32_e64 v1, 0, v1, s[2:3]
	v_mul_f64 v[9:10], v[13:14], v[1:2]
	v_cndmask_b32_e32 v4, 0, v4, vcc
	v_cndmask_b32_e32 v3, 0, v3, vcc
	v_mul_f64 v[5:6], v[21:22], v[3:4]
	v_mul_f64 v[11:12], v[3:4], v[19:20]
	;; [unrolled: 1-line block ×3, first 2 shown]
	v_div_fixup_f64 v[7:8], v[7:8], v[29:30], 1.0
	v_cmp_nlt_f64_e64 vcc, |v[29:30]|, s[4:5]
	v_mul_f64 v[29:30], v[1:2], v[27:28]
	v_mul_f64 v[1:2], v[1:2], v[25:26]
	v_mul_f64 v[17:18], v[5:6], v[19:20]
	v_mul_f64 v[21:22], v[21:22], v[5:6]
	v_mul_f64 v[5:6], v[5:6], v[15:16]
	v_mul_f64 v[37:38], v[11:12], v[15:16]
	v_mul_f64 v[11:12], v[19:20], v[11:12]
	v_mul_f64 v[3:4], v[15:16], v[3:4]
	v_cndmask_b32_e32 v8, 0, v8, vcc
	v_cndmask_b32_e32 v7, 0, v7, vcc
	v_mul_f64 v[35:36], v[33:34], v[7:8]
	v_fma_f64 v[17:18], v[9:10], v[27:28], v[17:18]
	v_mul_f64 v[39:40], v[7:8], v[31:32]
	v_fma_f64 v[13:14], v[13:14], v[9:10], v[21:22]
	v_fma_f64 v[5:6], v[9:10], v[25:26], v[5:6]
	;; [unrolled: 1-line block ×3, first 2 shown]
	v_mul_f64 v[7:8], v[7:8], v[23:24]
	v_fma_f64 v[11:12], v[27:28], v[29:30], v[11:12]
	buffer_load_dword v27, off, s[28:31], 0 offset:24 ; 4-byte Folded Reload
	buffer_load_dword v28, off, s[28:31], 0 offset:28 ; 4-byte Folded Reload
	;; [unrolled: 1-line block ×4, first 2 shown]
	v_fma_f64 v[1:2], v[25:26], v[1:2], v[3:4]
	buffer_load_dword v19, off, s[28:31], 0 offset:56 ; 4-byte Folded Reload
	buffer_load_dword v20, off, s[28:31], 0 offset:60 ; 4-byte Folded Reload
	v_fma_f64 v[17:18], v[35:36], v[31:32], v[17:18]
	v_fma_f64 v[15:16], v[35:36], v[23:24], v[5:6]
	;; [unrolled: 1-line block ×6, first 2 shown]
	buffer_load_dword v23, off, s[28:31], 0 offset:64 ; 4-byte Folded Reload
	buffer_load_dword v24, off, s[28:31], 0 offset:68 ; 4-byte Folded Reload
	;; [unrolled: 1-line block ×4, first 2 shown]
	s_waitcnt vmcnt(6)
	v_mul_f64 v[9:10], v[29:30], v[17:18]
	s_waitcnt vmcnt(4)
	v_mul_f64 v[11:12], v[19:20], v[15:16]
	v_mul_f64 v[19:20], v[19:20], v[5:6]
	v_fma_f64 v[9:10], v[27:28], v[13:14], v[9:10]
	s_waitcnt vmcnt(2)
	v_mul_f64 v[1:2], v[23:24], v[15:16]
	s_waitcnt vmcnt(0)
	v_fma_f64 v[13:14], v[21:22], v[17:18], v[11:12]
	buffer_load_dword v11, off, s[28:31], 0 offset:40 ; 4-byte Folded Reload
	buffer_load_dword v12, off, s[28:31], 0 offset:44 ; 4-byte Folded Reload
	v_fma_f64 v[3:4], v[21:22], v[3:4], v[19:20]
	v_mul_f64 v[5:6], v[23:24], v[5:6]
	v_mul_f64 v[7:8], v[23:24], v[7:8]
	s_waitcnt vmcnt(0)
	v_fma_f64 v[11:12], v[11:12], v[15:16], v[9:10]
	v_mov_b32_e32 v9, 0
	ds_write_b128 v9, v[1:4] offset:2160
	ds_write_b128 v9, v[11:14] offset:2144
	;; [unrolled: 1-line block ×3, first 2 shown]
.LBB8_89:
	s_or_b64 exec, exec, s[14:15]
	s_waitcnt lgkmcnt(0)
	s_barrier
	s_and_saveexec_b64 s[2:3], s[0:1]
	s_cbranch_execz .LBB8_91
; %bb.90:
	v_lshl_or_b32 v1, s6, 4, v0
	v_lshlrev_b32_e32 v0, 3, v0
	v_mov_b32_e32 v2, 0
	ds_read_b64 v[3:4], v0 offset:2096
	v_lshlrev_b64 v[1:2], 3, v[1:2]
	v_mov_b32_e32 v5, s11
	v_add_co_u32_e32 v0, vcc, s10, v1
	v_addc_co_u32_e32 v1, vcc, v5, v2, vcc
	s_waitcnt lgkmcnt(0)
	global_store_dwordx2 v[0:1], v[3:4], off
.LBB8_91:
	s_or_b64 exec, exec, s[2:3]
	s_andn2_saveexec_b64 s[0:1], s[12:13]
	s_cbranch_execz .LBB8_30
.LBB8_92:
	s_mov_b32 s7, 0
	s_lshl_b64 s[0:1], s[6:7], 2
	s_add_u32 s0, s8, s0
	s_addc_u32 s1, s9, s1
	v_mov_b32_e32 v0, 0
	v_mov_b32_e32 v1, 1
	global_store_dword v0, v1, s[0:1]
	s_endpgm
	.section	.rodata,"a",@progbits
	.p2align	6, 0x0
	.amdhsa_kernel _Z18prepare_svd_kernelILi256E10PayoffCallEviiT0_PKdPiPd
		.amdhsa_group_segment_fixed_size 2192
		.amdhsa_private_segment_fixed_size 76
		.amdhsa_kernarg_size 40
		.amdhsa_user_sgpr_count 6
		.amdhsa_user_sgpr_private_segment_buffer 1
		.amdhsa_user_sgpr_dispatch_ptr 0
		.amdhsa_user_sgpr_queue_ptr 0
		.amdhsa_user_sgpr_kernarg_segment_ptr 1
		.amdhsa_user_sgpr_dispatch_id 0
		.amdhsa_user_sgpr_flat_scratch_init 0
		.amdhsa_user_sgpr_private_segment_size 0
		.amdhsa_uses_dynamic_stack 0
		.amdhsa_system_sgpr_private_segment_wavefront_offset 1
		.amdhsa_system_sgpr_workgroup_id_x 1
		.amdhsa_system_sgpr_workgroup_id_y 0
		.amdhsa_system_sgpr_workgroup_id_z 0
		.amdhsa_system_sgpr_workgroup_info 0
		.amdhsa_system_vgpr_workitem_id 0
		.amdhsa_next_free_vgpr 64
		.amdhsa_next_free_sgpr 32
		.amdhsa_reserve_vcc 1
		.amdhsa_reserve_flat_scratch 0
		.amdhsa_float_round_mode_32 0
		.amdhsa_float_round_mode_16_64 0
		.amdhsa_float_denorm_mode_32 3
		.amdhsa_float_denorm_mode_16_64 3
		.amdhsa_dx10_clamp 1
		.amdhsa_ieee_mode 1
		.amdhsa_fp16_overflow 0
		.amdhsa_exception_fp_ieee_invalid_op 0
		.amdhsa_exception_fp_denorm_src 0
		.amdhsa_exception_fp_ieee_div_zero 0
		.amdhsa_exception_fp_ieee_overflow 0
		.amdhsa_exception_fp_ieee_underflow 0
		.amdhsa_exception_fp_ieee_inexact 0
		.amdhsa_exception_int_div_zero 0
	.end_amdhsa_kernel
	.section	.text._Z18prepare_svd_kernelILi256E10PayoffCallEviiT0_PKdPiPd,"axG",@progbits,_Z18prepare_svd_kernelILi256E10PayoffCallEviiT0_PKdPiPd,comdat
.Lfunc_end8:
	.size	_Z18prepare_svd_kernelILi256E10PayoffCallEviiT0_PKdPiPd, .Lfunc_end8-_Z18prepare_svd_kernelILi256E10PayoffCallEviiT0_PKdPiPd
                                        ; -- End function
	.set _Z18prepare_svd_kernelILi256E10PayoffCallEviiT0_PKdPiPd.num_vgpr, 64
	.set _Z18prepare_svd_kernelILi256E10PayoffCallEviiT0_PKdPiPd.num_agpr, 0
	.set _Z18prepare_svd_kernelILi256E10PayoffCallEviiT0_PKdPiPd.numbered_sgpr, 32
	.set _Z18prepare_svd_kernelILi256E10PayoffCallEviiT0_PKdPiPd.num_named_barrier, 0
	.set _Z18prepare_svd_kernelILi256E10PayoffCallEviiT0_PKdPiPd.private_seg_size, 76
	.set _Z18prepare_svd_kernelILi256E10PayoffCallEviiT0_PKdPiPd.uses_vcc, 1
	.set _Z18prepare_svd_kernelILi256E10PayoffCallEviiT0_PKdPiPd.uses_flat_scratch, 0
	.set _Z18prepare_svd_kernelILi256E10PayoffCallEviiT0_PKdPiPd.has_dyn_sized_stack, 0
	.set _Z18prepare_svd_kernelILi256E10PayoffCallEviiT0_PKdPiPd.has_recursion, 0
	.set _Z18prepare_svd_kernelILi256E10PayoffCallEviiT0_PKdPiPd.has_indirect_call, 0
	.section	.AMDGPU.csdata,"",@progbits
; Kernel info:
; codeLenInByte = 8728
; TotalNumSgprs: 36
; NumVgprs: 64
; ScratchSize: 76
; MemoryBound: 0
; FloatMode: 240
; IeeeMode: 1
; LDSByteSize: 2192 bytes/workgroup (compile time only)
; SGPRBlocks: 4
; VGPRBlocks: 15
; NumSGPRsForWavesPerEU: 36
; NumVGPRsForWavesPerEU: 64
; Occupancy: 4
; WaveLimiterHint : 0
; COMPUTE_PGM_RSRC2:SCRATCH_EN: 1
; COMPUTE_PGM_RSRC2:USER_SGPR: 6
; COMPUTE_PGM_RSRC2:TRAP_HANDLER: 0
; COMPUTE_PGM_RSRC2:TGID_X_EN: 1
; COMPUTE_PGM_RSRC2:TGID_Y_EN: 0
; COMPUTE_PGM_RSRC2:TGID_Z_EN: 0
; COMPUTE_PGM_RSRC2:TIDIG_COMP_CNT: 0
	.section	.text._Z27compute_partial_beta_kernelILi128E10PayoffCallEviT0_PKdS3_S3_PKiPd,"axG",@progbits,_Z27compute_partial_beta_kernelILi128E10PayoffCallEviT0_PKdS3_S3_PKiPd,comdat
	.protected	_Z27compute_partial_beta_kernelILi128E10PayoffCallEviT0_PKdS3_S3_PKiPd ; -- Begin function _Z27compute_partial_beta_kernelILi128E10PayoffCallEviT0_PKdS3_S3_PKiPd
	.globl	_Z27compute_partial_beta_kernelILi128E10PayoffCallEviT0_PKdS3_S3_PKiPd
	.p2align	8
	.type	_Z27compute_partial_beta_kernelILi128E10PayoffCallEviT0_PKdS3_S3_PKiPd,@function
_Z27compute_partial_beta_kernelILi128E10PayoffCallEviT0_PKdS3_S3_PKiPd: ; @_Z27compute_partial_beta_kernelILi128E10PayoffCallEviT0_PKdS3_S3_PKiPd
; %bb.0:
	s_mov_b64 s[22:23], s[2:3]
	s_mov_b64 s[20:21], s[0:1]
	s_load_dwordx2 s[0:1], s[4:5], 0x28
	s_add_u32 s20, s20, s7
	s_addc_u32 s21, s21, 0
	s_waitcnt lgkmcnt(0)
	s_load_dword s0, s[0:1], 0x0
	s_waitcnt lgkmcnt(0)
	s_cmp_lg_u32 s0, 0
	s_cbranch_scc0 .LBB9_2
.LBB9_1:
	s_endpgm
.LBB9_2:
	v_cmp_gt_u32_e32 vcc, 12, v0
	s_and_saveexec_b64 s[0:1], vcc
	s_cbranch_execz .LBB9_4
; %bb.3:
	s_load_dwordx2 s[2:3], s[4:5], 0x10
	v_lshlrev_b32_e32 v3, 3, v0
	s_waitcnt lgkmcnt(0)
	global_load_dwordx2 v[1:2], v3, s[2:3]
	s_waitcnt vmcnt(0)
	ds_write_b64 v3, v[1:2]
.LBB9_4:
	s_or_b64 exec, exec, s[0:1]
	s_load_dwordx2 s[8:9], s[4:5], 0x30
	s_load_dword s7, s[4:5], 0x0
	v_lshl_or_b32 v17, s6, 7, v0
	v_mov_b32_e32 v15, 0
	v_mov_b32_e32 v29, 0
	;; [unrolled: 1-line block ×6, first 2 shown]
	s_waitcnt lgkmcnt(0)
	v_cmp_gt_i32_e32 vcc, s7, v17
	s_barrier
	s_and_saveexec_b64 s[10:11], vcc
	s_cbranch_execz .LBB9_10
; %bb.5:
	v_mov_b32_e32 v19, 0
	ds_read_b128 v[9:12], v19
	ds_read_b128 v[1:4], v19 offset:16
	v_ashrrev_i32_e32 v18, 31, v17
	s_mov_b64 s[12:13], 0
	s_waitcnt lgkmcnt(1)
	v_div_scale_f64 v[5:6], s[0:1], v[9:10], v[9:10], 1.0
	s_waitcnt lgkmcnt(0)
	v_div_scale_f64 v[7:8], s[0:1], v[3:4], v[3:4], 1.0
	v_div_scale_f64 v[24:25], s[0:1], 1.0, v[3:4], 1.0
	v_rcp_f64_e32 v[13:14], v[5:6]
	v_rcp_f64_e32 v[15:16], v[7:8]
	v_fma_f64 v[20:21], -v[5:6], v[13:14], 1.0
	v_fma_f64 v[22:23], -v[7:8], v[15:16], 1.0
	v_fma_f64 v[13:14], v[13:14], v[20:21], v[13:14]
	v_div_scale_f64 v[20:21], vcc, 1.0, v[9:10], 1.0
	v_fma_f64 v[15:16], v[15:16], v[22:23], v[15:16]
	v_fma_f64 v[22:23], -v[5:6], v[13:14], 1.0
	v_fma_f64 v[26:27], -v[7:8], v[15:16], 1.0
	v_fma_f64 v[13:14], v[13:14], v[22:23], v[13:14]
	v_fma_f64 v[22:23], v[15:16], v[26:27], v[15:16]
	v_mul_f64 v[15:16], v[20:21], v[13:14]
	v_mul_f64 v[26:27], v[24:25], v[22:23]
	v_fma_f64 v[5:6], -v[5:6], v[15:16], v[20:21]
	v_fma_f64 v[7:8], -v[7:8], v[26:27], v[24:25]
	v_div_fmas_f64 v[5:6], v[5:6], v[13:14], v[15:16]
	ds_read_b128 v[13:16], v19 offset:32
	ds_read_b128 v[28:31], v19 offset:48
	s_mov_b64 vcc, s[0:1]
	v_div_fmas_f64 v[7:8], v[7:8], v[22:23], v[26:27]
	s_waitcnt lgkmcnt(0)
	buffer_store_dword v28, off, s[20:23], 0 ; 4-byte Folded Spill
	s_nop 0
	buffer_store_dword v29, off, s[20:23], 0 offset:4 ; 4-byte Folded Spill
	buffer_store_dword v30, off, s[20:23], 0 offset:8 ; 4-byte Folded Spill
	;; [unrolled: 1-line block ×3, first 2 shown]
	v_div_scale_f64 v[20:21], s[0:1], v[15:16], v[15:16], 1.0
	v_cmp_neq_f64_e64 s[0:1], 0, v[3:4]
	v_cmp_neq_f64_e64 s[2:3], 0, v[15:16]
	v_mov_b32_e32 v29, 0
	v_mov_b32_e32 v30, 0
	v_div_fixup_f64 v[5:6], v[5:6], v[9:10], 1.0
	v_div_fixup_f64 v[7:8], v[7:8], v[3:4], 1.0
	v_rcp_f64_e32 v[22:23], v[20:21]
	v_cndmask_b32_e64 v8, 0, v8, s[0:1]
	v_cndmask_b32_e64 v7, 0, v7, s[0:1]
	buffer_store_dword v7, off, s[20:23], 0 offset:16 ; 4-byte Folded Spill
	s_nop 0
	buffer_store_dword v8, off, s[20:23], 0 offset:20 ; 4-byte Folded Spill
	v_fma_f64 v[24:25], -v[20:21], v[22:23], 1.0
	v_fma_f64 v[22:23], v[22:23], v[24:25], v[22:23]
	v_fma_f64 v[24:25], -v[20:21], v[22:23], 1.0
	v_fma_f64 v[22:23], v[22:23], v[24:25], v[22:23]
	v_div_scale_f64 v[24:25], vcc, 1.0, v[15:16], 1.0
	v_mul_f64 v[26:27], v[24:25], v[22:23]
	v_fma_f64 v[20:21], -v[20:21], v[26:27], v[24:25]
	s_nop 1
	v_div_fmas_f64 v[20:21], v[20:21], v[22:23], v[26:27]
	v_cmp_neq_f64_e32 vcc, 0, v[9:10]
	v_lshlrev_b64 v[27:28], 3, v[17:18]
	v_cndmask_b32_e32 v6, 0, v6, vcc
	v_cndmask_b32_e32 v5, 0, v5, vcc
	v_div_fixup_f64 v[3:4], v[20:21], v[15:16], 1.0
	v_mov_b32_e32 v15, 0
	v_mov_b32_e32 v16, 0
	v_cndmask_b32_e64 v10, 0, v4, s[2:3]
	v_cndmask_b32_e64 v9, 0, v3, s[2:3]
	v_mul_f64 v[3:4], v[5:6], v[7:8]
	s_load_dword s14, s[4:5], 0x38
	s_load_dwordx4 s[0:3], s[4:5], 0x18
	s_nop 0
	s_load_dwordx2 s[4:5], s[4:5], 0x8
	s_waitcnt lgkmcnt(0)
	s_lshl_b32 s14, s14, 7
	s_ashr_i32 s15, s14, 31
	s_lshl_b64 s[16:17], s[14:15], 3
	v_mul_f64 v[3:4], v[11:12], v[3:4]
	buffer_store_dword v3, off, s[20:23], 0 offset:32 ; 4-byte Folded Spill
	s_nop 0
	buffer_store_dword v4, off, s[20:23], 0 offset:36 ; 4-byte Folded Spill
	v_mul_f64 v[3:4], v[5:6], v[9:10]
	buffer_store_dword v9, off, s[20:23], 0 offset:24 ; 4-byte Folded Spill
	s_nop 0
	buffer_store_dword v10, off, s[20:23], 0 offset:28 ; 4-byte Folded Spill
	v_mul_f64 v[1:2], v[1:2], v[3:4]
	v_mul_f64 v[7:8], v[13:14], v[9:10]
	buffer_store_dword v7, off, s[20:23], 0 offset:40 ; 4-byte Folded Spill
	s_nop 0
	buffer_store_dword v8, off, s[20:23], 0 offset:44 ; 4-byte Folded Spill
	buffer_load_dword v7, off, s[20:23], 0  ; 4-byte Folded Reload
	s_nop 0
	buffer_load_dword v8, off, s[20:23], 0 offset:4 ; 4-byte Folded Reload
	buffer_load_dword v9, off, s[20:23], 0 offset:8 ; 4-byte Folded Reload
	;; [unrolled: 1-line block ×3, first 2 shown]
	s_waitcnt vmcnt(2)
	v_mul_f64 v[5:6], v[5:6], v[7:8]
	buffer_store_dword v5, off, s[20:23], 0 offset:80 ; 4-byte Folded Spill
	s_nop 0
	buffer_store_dword v6, off, s[20:23], 0 offset:84 ; 4-byte Folded Spill
	buffer_store_dword v1, off, s[20:23], 0 offset:88 ; 4-byte Folded Spill
	s_nop 0
	buffer_store_dword v2, off, s[20:23], 0 offset:92 ; 4-byte Folded Spill
	ds_read_b128 v[1:4], v19 offset:64
	s_waitcnt lgkmcnt(0)
	buffer_store_dword v1, off, s[20:23], 0 offset:48 ; 4-byte Folded Spill
	s_nop 0
	buffer_store_dword v2, off, s[20:23], 0 offset:52 ; 4-byte Folded Spill
	buffer_store_dword v3, off, s[20:23], 0 offset:56 ; 4-byte Folded Spill
	;; [unrolled: 1-line block ×3, first 2 shown]
	ds_read_b128 v[1:4], v19 offset:80
	v_mov_b32_e32 v5, 0
	v_mov_b32_e32 v6, 0
	s_waitcnt lgkmcnt(0)
	buffer_store_dword v1, off, s[20:23], 0 offset:64 ; 4-byte Folded Spill
	s_nop 0
	buffer_store_dword v2, off, s[20:23], 0 offset:68 ; 4-byte Folded Spill
	buffer_store_dword v3, off, s[20:23], 0 offset:72 ; 4-byte Folded Spill
	;; [unrolled: 1-line block ×3, first 2 shown]
	s_branch .LBB9_7
.LBB9_6:                                ;   in Loop: Header=BB9_7 Depth=1
	s_or_b64 exec, exec, s[18:19]
	buffer_load_dword v1, off, s[20:23], 0 offset:24 ; 4-byte Folded Reload
	buffer_load_dword v2, off, s[20:23], 0 offset:28 ; 4-byte Folded Reload
	v_add_co_u32_e32 v27, vcc, s16, v27
	v_add_u32_e32 v17, s14, v17
	s_waitcnt vmcnt(0)
	v_mul_f64 v[22:23], v[1:2], v[20:21]
	buffer_load_dword v1, off, s[20:23], 0 offset:88 ; 4-byte Folded Reload
	buffer_load_dword v2, off, s[20:23], 0 offset:92 ; 4-byte Folded Reload
	s_waitcnt vmcnt(0)
	v_fma_f64 v[22:23], v[20:21], v[22:23], -v[1:2]
	buffer_load_dword v1, off, s[20:23], 0 offset:16 ; 4-byte Folded Reload
	buffer_load_dword v2, off, s[20:23], 0 offset:20 ; 4-byte Folded Reload
	;; [unrolled: 1-line block ×4, first 2 shown]
	s_waitcnt vmcnt(0)
	v_fma_f64 v[20:21], v[1:2], v[20:21], -v[3:4]
	buffer_load_dword v1, off, s[20:23], 0 offset:40 ; 4-byte Folded Reload
	buffer_load_dword v2, off, s[20:23], 0 offset:44 ; 4-byte Folded Reload
	;; [unrolled: 1-line block ×10, first 2 shown]
	s_waitcnt vmcnt(8)
	v_fma_f64 v[22:23], -v[1:2], v[20:21], v[22:23]
	buffer_load_dword v1, off, s[20:23], 0  ; 4-byte Folded Reload
	buffer_load_dword v2, off, s[20:23], 0 offset:4 ; 4-byte Folded Reload
	buffer_load_dword v3, off, s[20:23], 0 offset:8 ; 4-byte Folded Reload
	buffer_load_dword v4, off, s[20:23], 0 offset:12 ; 4-byte Folded Reload
	buffer_load_dword v1, off, s[20:23], 0 offset:80 ; 4-byte Folded Reload
	buffer_load_dword v2, off, s[20:23], 0 offset:84 ; 4-byte Folded Reload
	s_waitcnt vmcnt(12)
	v_mul_f64 v[24:25], v[11:12], v[22:23]
	s_waitcnt vmcnt(6)
	v_fma_f64 v[24:25], v[9:10], v[20:21], v[24:25]
	v_fma_f64 v[29:30], v[24:25], v[18:19], v[29:30]
	s_waitcnt vmcnt(0)
	v_fma_f64 v[20:21], v[3:4], v[20:21], v[1:2]
	v_fma_f64 v[20:21], v[7:8], v[22:23], v[20:21]
	;; [unrolled: 1-line block ×3, first 2 shown]
	v_mul_f64 v[20:21], v[13:14], v[22:23]
	v_fma_f64 v[5:6], v[20:21], v[18:19], v[5:6]
	v_mov_b32_e32 v18, s17
	v_addc_co_u32_e32 v28, vcc, v28, v18, vcc
	v_cmp_le_i32_e32 vcc, s7, v17
	s_or_b64 s[12:13], vcc, s[12:13]
	s_andn2_b64 exec, exec, s[12:13]
	s_cbranch_execz .LBB9_9
.LBB9_7:                                ; =>This Inner Loop Header: Depth=1
	v_mov_b32_e32 v19, s1
	v_add_co_u32_e32 v18, vcc, s0, v27
	v_addc_co_u32_e32 v19, vcc, v19, v28, vcc
	global_load_dwordx2 v[20:21], v[18:19], off
	v_mov_b32_e32 v18, 0
	v_mov_b32_e32 v19, 0
	s_waitcnt vmcnt(0)
	v_cmp_lt_f64_e32 vcc, s[4:5], v[20:21]
	s_and_saveexec_b64 s[18:19], vcc
	s_cbranch_execz .LBB9_6
; %bb.8:                                ;   in Loop: Header=BB9_7 Depth=1
	v_mov_b32_e32 v19, s3
	v_add_co_u32_e32 v18, vcc, s2, v27
	v_addc_co_u32_e32 v19, vcc, v19, v28, vcc
	global_load_dwordx2 v[18:19], v[18:19], off
	s_branch .LBB9_6
.LBB9_9:
	s_or_b64 exec, exec, s[12:13]
.LBB9_10:
	s_or_b64 exec, exec, s[10:11]
	v_cmp_eq_u32_e32 vcc, 0, v0
	s_and_saveexec_b64 s[0:1], vcc
	s_cbranch_execz .LBB9_12
; %bb.11:
	v_mov_b32_e32 v0, 0
	v_mov_b32_e32 v1, v0
	;; [unrolled: 1-line block ×4, first 2 shown]
	ds_write_b128 v0, v[0:3] offset:96
	ds_write_b64 v0, v[0:1] offset:112
.LBB9_12:
	s_or_b64 exec, exec, s[0:1]
	v_mov_b32_e32 v0, 0
	s_mov_b64 s[0:1], exec
	v_bfrev_b32_e32 v1, 1
	s_waitcnt lgkmcnt(0)
	s_barrier
.LBB9_13:                               ; =>This Inner Loop Header: Depth=1
	s_ff1_i32_b64 s4, s[0:1]
	v_readlane_b32 s3, v16, s4
	v_readlane_b32 s2, v15, s4
	v_add_f64 v[0:1], v[0:1], s[2:3]
	s_lshl_b64 s[2:3], 1, s4
	s_andn2_b64 s[0:1], s[0:1], s[2:3]
	s_cmp_lg_u64 s[0:1], 0
	s_cbranch_scc1 .LBB9_13
; %bb.14:
	v_mbcnt_lo_u32_b32 v2, exec_lo, 0
	v_mbcnt_hi_u32_b32 v2, exec_hi, v2
	v_cmp_eq_u32_e64 s[0:1], 0, v2
	s_and_saveexec_b64 s[2:3], s[0:1]
	s_xor_b64 s[2:3], exec, s[2:3]
	s_cbranch_execz .LBB9_18
; %bb.15:
	v_mov_b32_e32 v4, 0
	ds_read_b64 v[2:3], v4 offset:96
	s_mov_b64 s[4:5], 0
.LBB9_16:                               ; =>This Inner Loop Header: Depth=1
	s_waitcnt lgkmcnt(0)
	v_add_f64 v[7:8], v[2:3], v[0:1]
	ds_cmpst_rtn_b64 v[7:8], v4, v[2:3], v[7:8] offset:96
	s_waitcnt lgkmcnt(0)
	v_cmp_eq_u64_e64 s[0:1], v[7:8], v[2:3]
	v_mov_b32_e32 v2, v7
	s_or_b64 s[4:5], s[0:1], s[4:5]
	v_mov_b32_e32 v3, v8
	s_andn2_b64 exec, exec, s[4:5]
	s_cbranch_execnz .LBB9_16
; %bb.17:
	s_or_b64 exec, exec, s[4:5]
.LBB9_18:
	s_or_b64 exec, exec, s[2:3]
	v_mov_b32_e32 v0, 0
	s_mov_b64 s[0:1], exec
	v_bfrev_b32_e32 v1, 1
.LBB9_19:                               ; =>This Inner Loop Header: Depth=1
	s_ff1_i32_b64 s4, s[0:1]
	v_readlane_b32 s3, v30, s4
	v_readlane_b32 s2, v29, s4
	v_add_f64 v[0:1], v[0:1], s[2:3]
	s_lshl_b64 s[2:3], 1, s4
	s_andn2_b64 s[0:1], s[0:1], s[2:3]
	s_cmp_lg_u64 s[0:1], 0
	s_cbranch_scc1 .LBB9_19
; %bb.20:
	v_mbcnt_lo_u32_b32 v2, exec_lo, 0
	v_mbcnt_hi_u32_b32 v2, exec_hi, v2
	v_cmp_eq_u32_e64 s[0:1], 0, v2
	s_and_saveexec_b64 s[2:3], s[0:1]
	s_xor_b64 s[2:3], exec, s[2:3]
	s_cbranch_execz .LBB9_24
; %bb.21:
	v_mov_b32_e32 v4, 0
	ds_read_b64 v[2:3], v4 offset:104
	s_mov_b64 s[4:5], 0
.LBB9_22:                               ; =>This Inner Loop Header: Depth=1
	s_waitcnt lgkmcnt(0)
	v_add_f64 v[7:8], v[2:3], v[0:1]
	ds_cmpst_rtn_b64 v[7:8], v4, v[2:3], v[7:8] offset:104
	s_waitcnt lgkmcnt(0)
	v_cmp_eq_u64_e64 s[0:1], v[7:8], v[2:3]
	v_mov_b32_e32 v2, v7
	s_or_b64 s[4:5], s[0:1], s[4:5]
	v_mov_b32_e32 v3, v8
	s_andn2_b64 exec, exec, s[4:5]
	s_cbranch_execnz .LBB9_22
; %bb.23:
	s_or_b64 exec, exec, s[4:5]
.LBB9_24:
	s_or_b64 exec, exec, s[2:3]
	v_mov_b32_e32 v0, 0
	s_mov_b64 s[0:1], exec
	v_bfrev_b32_e32 v1, 1
.LBB9_25:                               ; =>This Inner Loop Header: Depth=1
	s_ff1_i32_b64 s4, s[0:1]
	v_readlane_b32 s3, v6, s4
	v_readlane_b32 s2, v5, s4
	v_add_f64 v[0:1], v[0:1], s[2:3]
	s_lshl_b64 s[2:3], 1, s4
	s_andn2_b64 s[0:1], s[0:1], s[2:3]
	s_cmp_lg_u64 s[0:1], 0
	s_cbranch_scc1 .LBB9_25
; %bb.26:
	v_mbcnt_lo_u32_b32 v2, exec_lo, 0
	v_mbcnt_hi_u32_b32 v2, exec_hi, v2
	v_cmp_eq_u32_e64 s[0:1], 0, v2
	s_and_saveexec_b64 s[2:3], s[0:1]
	s_xor_b64 s[2:3], exec, s[2:3]
	s_cbranch_execz .LBB9_30
; %bb.27:
	v_mov_b32_e32 v4, 0
	ds_read_b64 v[2:3], v4 offset:112
	s_mov_b64 s[4:5], 0
.LBB9_28:                               ; =>This Inner Loop Header: Depth=1
	s_waitcnt lgkmcnt(0)
	v_add_f64 v[5:6], v[2:3], v[0:1]
	ds_cmpst_rtn_b64 v[5:6], v4, v[2:3], v[5:6] offset:112
	s_waitcnt lgkmcnt(0)
	v_cmp_eq_u64_e64 s[0:1], v[5:6], v[2:3]
	v_mov_b32_e32 v2, v5
	s_or_b64 s[4:5], s[0:1], s[4:5]
	v_mov_b32_e32 v3, v6
	s_andn2_b64 exec, exec, s[4:5]
	s_cbranch_execnz .LBB9_28
; %bb.29:
	s_or_b64 exec, exec, s[4:5]
.LBB9_30:
	s_or_b64 exec, exec, s[2:3]
	s_barrier
	s_and_saveexec_b64 s[0:1], vcc
	s_cbranch_execz .LBB9_1
; %bb.31:
	v_mov_b32_e32 v6, 0
	ds_read_b128 v[0:3], v6 offset:96
	ds_read_b64 v[4:5], v6 offset:112
	s_mov_b32 s7, 0
	s_lshl_b64 s[0:1], s[6:7], 3
	s_add_u32 s0, s8, s0
	s_addc_u32 s1, s9, s1
	s_waitcnt lgkmcnt(1)
	global_store_dwordx2 v6, v[0:1], s[0:1]
	s_add_i32 s0, s6, 0x80
	s_mov_b32 s1, s7
	s_lshl_b64 s[0:1], s[0:1], 3
	s_add_u32 s0, s8, s0
	s_addc_u32 s1, s9, s1
	s_addk_i32 s6, 0x100
	global_store_dwordx2 v6, v[2:3], s[0:1]
	s_lshl_b64 s[0:1], s[6:7], 3
	s_add_u32 s0, s8, s0
	s_addc_u32 s1, s9, s1
	s_waitcnt lgkmcnt(0)
	global_store_dwordx2 v6, v[4:5], s[0:1]
	s_endpgm
	.section	.rodata,"a",@progbits
	.p2align	6, 0x0
	.amdhsa_kernel _Z27compute_partial_beta_kernelILi128E10PayoffCallEviT0_PKdS3_S3_PKiPd
		.amdhsa_group_segment_fixed_size 120
		.amdhsa_private_segment_fixed_size 100
		.amdhsa_kernarg_size 312
		.amdhsa_user_sgpr_count 6
		.amdhsa_user_sgpr_private_segment_buffer 1
		.amdhsa_user_sgpr_dispatch_ptr 0
		.amdhsa_user_sgpr_queue_ptr 0
		.amdhsa_user_sgpr_kernarg_segment_ptr 1
		.amdhsa_user_sgpr_dispatch_id 0
		.amdhsa_user_sgpr_flat_scratch_init 0
		.amdhsa_user_sgpr_private_segment_size 0
		.amdhsa_uses_dynamic_stack 0
		.amdhsa_system_sgpr_private_segment_wavefront_offset 1
		.amdhsa_system_sgpr_workgroup_id_x 1
		.amdhsa_system_sgpr_workgroup_id_y 0
		.amdhsa_system_sgpr_workgroup_id_z 0
		.amdhsa_system_sgpr_workgroup_info 0
		.amdhsa_system_vgpr_workitem_id 0
		.amdhsa_next_free_vgpr 32
		.amdhsa_next_free_sgpr 24
		.amdhsa_reserve_vcc 1
		.amdhsa_reserve_flat_scratch 0
		.amdhsa_float_round_mode_32 0
		.amdhsa_float_round_mode_16_64 0
		.amdhsa_float_denorm_mode_32 3
		.amdhsa_float_denorm_mode_16_64 3
		.amdhsa_dx10_clamp 1
		.amdhsa_ieee_mode 1
		.amdhsa_fp16_overflow 0
		.amdhsa_exception_fp_ieee_invalid_op 0
		.amdhsa_exception_fp_denorm_src 0
		.amdhsa_exception_fp_ieee_div_zero 0
		.amdhsa_exception_fp_ieee_overflow 0
		.amdhsa_exception_fp_ieee_underflow 0
		.amdhsa_exception_fp_ieee_inexact 0
		.amdhsa_exception_int_div_zero 0
	.end_amdhsa_kernel
	.section	.text._Z27compute_partial_beta_kernelILi128E10PayoffCallEviT0_PKdS3_S3_PKiPd,"axG",@progbits,_Z27compute_partial_beta_kernelILi128E10PayoffCallEviT0_PKdS3_S3_PKiPd,comdat
.Lfunc_end9:
	.size	_Z27compute_partial_beta_kernelILi128E10PayoffCallEviT0_PKdS3_S3_PKiPd, .Lfunc_end9-_Z27compute_partial_beta_kernelILi128E10PayoffCallEviT0_PKdS3_S3_PKiPd
                                        ; -- End function
	.set _Z27compute_partial_beta_kernelILi128E10PayoffCallEviT0_PKdS3_S3_PKiPd.num_vgpr, 32
	.set _Z27compute_partial_beta_kernelILi128E10PayoffCallEviT0_PKdS3_S3_PKiPd.num_agpr, 0
	.set _Z27compute_partial_beta_kernelILi128E10PayoffCallEviT0_PKdS3_S3_PKiPd.numbered_sgpr, 24
	.set _Z27compute_partial_beta_kernelILi128E10PayoffCallEviT0_PKdS3_S3_PKiPd.num_named_barrier, 0
	.set _Z27compute_partial_beta_kernelILi128E10PayoffCallEviT0_PKdS3_S3_PKiPd.private_seg_size, 100
	.set _Z27compute_partial_beta_kernelILi128E10PayoffCallEviT0_PKdS3_S3_PKiPd.uses_vcc, 1
	.set _Z27compute_partial_beta_kernelILi128E10PayoffCallEviT0_PKdS3_S3_PKiPd.uses_flat_scratch, 0
	.set _Z27compute_partial_beta_kernelILi128E10PayoffCallEviT0_PKdS3_S3_PKiPd.has_dyn_sized_stack, 0
	.set _Z27compute_partial_beta_kernelILi128E10PayoffCallEviT0_PKdS3_S3_PKiPd.has_recursion, 0
	.set _Z27compute_partial_beta_kernelILi128E10PayoffCallEviT0_PKdS3_S3_PKiPd.has_indirect_call, 0
	.section	.AMDGPU.csdata,"",@progbits
; Kernel info:
; codeLenInByte = 2080
; TotalNumSgprs: 28
; NumVgprs: 32
; ScratchSize: 100
; MemoryBound: 0
; FloatMode: 240
; IeeeMode: 1
; LDSByteSize: 120 bytes/workgroup (compile time only)
; SGPRBlocks: 3
; VGPRBlocks: 7
; NumSGPRsForWavesPerEU: 28
; NumVGPRsForWavesPerEU: 32
; Occupancy: 8
; WaveLimiterHint : 0
; COMPUTE_PGM_RSRC2:SCRATCH_EN: 1
; COMPUTE_PGM_RSRC2:USER_SGPR: 6
; COMPUTE_PGM_RSRC2:TRAP_HANDLER: 0
; COMPUTE_PGM_RSRC2:TGID_X_EN: 1
; COMPUTE_PGM_RSRC2:TGID_Y_EN: 0
; COMPUTE_PGM_RSRC2:TGID_Z_EN: 0
; COMPUTE_PGM_RSRC2:TIDIG_COMP_CNT: 0
	.section	.text._Z22update_cashflow_kernelILi128E10PayoffCallEviT0_dPKdS3_PKiPd,"axG",@progbits,_Z22update_cashflow_kernelILi128E10PayoffCallEviT0_dPKdS3_PKiPd,comdat
	.protected	_Z22update_cashflow_kernelILi128E10PayoffCallEviT0_dPKdS3_PKiPd ; -- Begin function _Z22update_cashflow_kernelILi128E10PayoffCallEviT0_dPKdS3_PKiPd
	.globl	_Z22update_cashflow_kernelILi128E10PayoffCallEviT0_dPKdS3_PKiPd
	.p2align	8
	.type	_Z22update_cashflow_kernelILi128E10PayoffCallEviT0_dPKdS3_PKiPd,@function
_Z22update_cashflow_kernelILi128E10PayoffCallEviT0_dPKdS3_PKiPd: ; @_Z22update_cashflow_kernelILi128E10PayoffCallEviT0_dPKdS3_PKiPd
; %bb.0:
	s_load_dword s28, s[4:5], 0x0
	v_lshl_or_b32 v0, s6, 7, v0
	s_waitcnt lgkmcnt(0)
	v_cmp_gt_i32_e32 vcc, s28, v0
	s_and_saveexec_b64 s[0:1], vcc
	s_cbranch_execz .LBB10_9
; %bb.1:
	s_load_dwordx4 s[0:3], s[4:5], 0x28
	s_load_dword s6, s[4:5], 0x38
	s_load_dwordx8 s[8:15], s[4:5], 0x8
	v_ashrrev_i32_e32 v1, 31, v0
	v_lshlrev_b64 v[1:2], 3, v[0:1]
	s_waitcnt lgkmcnt(0)
	s_load_dword s0, s[0:1], 0x0
	s_lshl_b32 s16, s6, 7
	s_load_dwordx4 s[4:7], s[12:13], 0x0
	s_load_dwordx2 s[18:19], s[12:13], 0x10
	s_mov_b32 s22, 0xe2308c3a
	s_mov_b64 s[20:21], 0
	s_waitcnt lgkmcnt(0)
	s_cmp_eq_u32 s0, 0
	s_cselect_b64 s[0:1], -1, 0
	s_ashr_i32 s17, s16, 31
	s_lshl_b64 s[12:13], s[16:17], 3
	v_cndmask_b32_e64 v3, 0, 1, s[0:1]
	v_mov_b32_e32 v11, s3
	v_cmp_ne_u32_e64 s[0:1], 1, v3
	s_mov_b32 s23, 0x3e45798e
	v_mov_b32_e32 v12, s13
	s_branch .LBB10_4
.LBB10_2:                               ;   in Loop: Header=BB10_4 Depth=1
	s_or_b64 exec, exec, s[26:27]
	v_mov_b32_e32 v5, v7
	v_mov_b32_e32 v6, v8
.LBB10_3:                               ;   in Loop: Header=BB10_4 Depth=1
	v_add_u32_e32 v0, s16, v0
	v_cmp_le_i32_e32 vcc, s28, v0
	s_or_b64 s[20:21], vcc, s[20:21]
	v_add_co_u32_e32 v1, vcc, s12, v1
	v_addc_co_u32_e32 v2, vcc, v2, v12, vcc
	global_store_dwordx2 v[3:4], v[5:6], off
	s_andn2_b64 exec, exec, s[20:21]
	s_cbranch_execz .LBB10_9
.LBB10_4:                               ; =>This Inner Loop Header: Depth=1
	v_add_co_u32_e32 v3, vcc, s2, v1
	v_addc_co_u32_e32 v4, vcc, v11, v2, vcc
	global_load_dwordx2 v[5:6], v[3:4], off
	s_and_b64 vcc, exec, s[0:1]
	s_waitcnt vmcnt(0)
	v_mul_f64 v[5:6], s[10:11], v[5:6]
	s_cbranch_vccnz .LBB10_3
; %bb.5:                                ;   in Loop: Header=BB10_4 Depth=1
	v_mov_b32_e32 v8, s15
	v_add_co_u32_e32 v7, vcc, s14, v1
	v_addc_co_u32_e32 v8, vcc, v8, v2, vcc
	global_load_dwordx2 v[9:10], v[7:8], off
	s_waitcnt vmcnt(0)
	v_add_f64 v[7:8], v[9:10], -s[8:9]
	v_max_f64 v[7:8], v[7:8], 0
	v_cmp_ge_f64_e64 s[24:25], s[22:23], v[7:8]
	v_cmp_nge_f64_e32 vcc, s[22:23], v[7:8]
	s_and_saveexec_b64 s[26:27], vcc
	s_cbranch_execz .LBB10_7
; %bb.6:                                ;   in Loop: Header=BB10_4 Depth=1
	v_mov_b32_e32 v14, s5
	v_mov_b32_e32 v13, s4
	v_fma_f64 v[13:14], s[6:7], v[9:10], v[13:14]
	v_mul_f64 v[9:10], v[9:10], v[9:10]
	s_andn2_b64 s[24:25], s[24:25], exec
	v_fma_f64 v[9:10], s[18:19], v[9:10], v[13:14]
	v_mul_f64 v[9:10], s[10:11], v[9:10]
	v_cmp_le_f64_e32 vcc, v[7:8], v[9:10]
	s_and_b64 s[30:31], vcc, exec
	s_or_b64 s[24:25], s[24:25], s[30:31]
.LBB10_7:                               ;   in Loop: Header=BB10_4 Depth=1
	s_or_b64 exec, exec, s[26:27]
	s_and_saveexec_b64 s[26:27], s[24:25]
	s_cbranch_execz .LBB10_2
; %bb.8:                                ;   in Loop: Header=BB10_4 Depth=1
	v_mov_b32_e32 v8, v6
	v_mov_b32_e32 v7, v5
	s_branch .LBB10_2
.LBB10_9:
	s_endpgm
	.section	.rodata,"a",@progbits
	.p2align	6, 0x0
	.amdhsa_kernel _Z22update_cashflow_kernelILi128E10PayoffCallEviT0_dPKdS3_PKiPd
		.amdhsa_group_segment_fixed_size 0
		.amdhsa_private_segment_fixed_size 0
		.amdhsa_kernarg_size 312
		.amdhsa_user_sgpr_count 6
		.amdhsa_user_sgpr_private_segment_buffer 1
		.amdhsa_user_sgpr_dispatch_ptr 0
		.amdhsa_user_sgpr_queue_ptr 0
		.amdhsa_user_sgpr_kernarg_segment_ptr 1
		.amdhsa_user_sgpr_dispatch_id 0
		.amdhsa_user_sgpr_flat_scratch_init 0
		.amdhsa_user_sgpr_private_segment_size 0
		.amdhsa_uses_dynamic_stack 0
		.amdhsa_system_sgpr_private_segment_wavefront_offset 0
		.amdhsa_system_sgpr_workgroup_id_x 1
		.amdhsa_system_sgpr_workgroup_id_y 0
		.amdhsa_system_sgpr_workgroup_id_z 0
		.amdhsa_system_sgpr_workgroup_info 0
		.amdhsa_system_vgpr_workitem_id 0
		.amdhsa_next_free_vgpr 15
		.amdhsa_next_free_sgpr 32
		.amdhsa_reserve_vcc 1
		.amdhsa_reserve_flat_scratch 0
		.amdhsa_float_round_mode_32 0
		.amdhsa_float_round_mode_16_64 0
		.amdhsa_float_denorm_mode_32 3
		.amdhsa_float_denorm_mode_16_64 3
		.amdhsa_dx10_clamp 1
		.amdhsa_ieee_mode 1
		.amdhsa_fp16_overflow 0
		.amdhsa_exception_fp_ieee_invalid_op 0
		.amdhsa_exception_fp_denorm_src 0
		.amdhsa_exception_fp_ieee_div_zero 0
		.amdhsa_exception_fp_ieee_overflow 0
		.amdhsa_exception_fp_ieee_underflow 0
		.amdhsa_exception_fp_ieee_inexact 0
		.amdhsa_exception_int_div_zero 0
	.end_amdhsa_kernel
	.section	.text._Z22update_cashflow_kernelILi128E10PayoffCallEviT0_dPKdS3_PKiPd,"axG",@progbits,_Z22update_cashflow_kernelILi128E10PayoffCallEviT0_dPKdS3_PKiPd,comdat
.Lfunc_end10:
	.size	_Z22update_cashflow_kernelILi128E10PayoffCallEviT0_dPKdS3_PKiPd, .Lfunc_end10-_Z22update_cashflow_kernelILi128E10PayoffCallEviT0_dPKdS3_PKiPd
                                        ; -- End function
	.set _Z22update_cashflow_kernelILi128E10PayoffCallEviT0_dPKdS3_PKiPd.num_vgpr, 15
	.set _Z22update_cashflow_kernelILi128E10PayoffCallEviT0_dPKdS3_PKiPd.num_agpr, 0
	.set _Z22update_cashflow_kernelILi128E10PayoffCallEviT0_dPKdS3_PKiPd.numbered_sgpr, 32
	.set _Z22update_cashflow_kernelILi128E10PayoffCallEviT0_dPKdS3_PKiPd.num_named_barrier, 0
	.set _Z22update_cashflow_kernelILi128E10PayoffCallEviT0_dPKdS3_PKiPd.private_seg_size, 0
	.set _Z22update_cashflow_kernelILi128E10PayoffCallEviT0_dPKdS3_PKiPd.uses_vcc, 1
	.set _Z22update_cashflow_kernelILi128E10PayoffCallEviT0_dPKdS3_PKiPd.uses_flat_scratch, 0
	.set _Z22update_cashflow_kernelILi128E10PayoffCallEviT0_dPKdS3_PKiPd.has_dyn_sized_stack, 0
	.set _Z22update_cashflow_kernelILi128E10PayoffCallEviT0_dPKdS3_PKiPd.has_recursion, 0
	.set _Z22update_cashflow_kernelILi128E10PayoffCallEviT0_dPKdS3_PKiPd.has_indirect_call, 0
	.section	.AMDGPU.csdata,"",@progbits
; Kernel info:
; codeLenInByte = 396
; TotalNumSgprs: 36
; NumVgprs: 15
; ScratchSize: 0
; MemoryBound: 0
; FloatMode: 240
; IeeeMode: 1
; LDSByteSize: 0 bytes/workgroup (compile time only)
; SGPRBlocks: 4
; VGPRBlocks: 3
; NumSGPRsForWavesPerEU: 36
; NumVGPRsForWavesPerEU: 15
; Occupancy: 10
; WaveLimiterHint : 0
; COMPUTE_PGM_RSRC2:SCRATCH_EN: 0
; COMPUTE_PGM_RSRC2:USER_SGPR: 6
; COMPUTE_PGM_RSRC2:TRAP_HANDLER: 0
; COMPUTE_PGM_RSRC2:TGID_X_EN: 1
; COMPUTE_PGM_RSRC2:TGID_Y_EN: 0
; COMPUTE_PGM_RSRC2:TGID_Z_EN: 0
; COMPUTE_PGM_RSRC2:TIDIG_COMP_CNT: 0
	.section	.AMDGPU.gpr_maximums,"",@progbits
	.set amdgpu.max_num_vgpr, 0
	.set amdgpu.max_num_agpr, 0
	.set amdgpu.max_num_sgpr, 0
	.section	.AMDGPU.csdata,"",@progbits
	.type	__hip_cuid_aee6c124d8e390,@object ; @__hip_cuid_aee6c124d8e390
	.section	.bss,"aw",@nobits
	.globl	__hip_cuid_aee6c124d8e390
__hip_cuid_aee6c124d8e390:
	.byte	0                               ; 0x0
	.size	__hip_cuid_aee6c124d8e390, 1

	.ident	"AMD clang version 22.0.0git (https://github.com/RadeonOpenCompute/llvm-project roc-7.2.4 26084 f58b06dce1f9c15707c5f808fd002e18c2accf7e)"
	.section	".note.GNU-stack","",@progbits
	.addrsig
	.addrsig_sym __hip_cuid_aee6c124d8e390
	.amdgpu_metadata
---
amdhsa.kernels:
  - .args:
      - .offset:         0
        .size:           4
        .value_kind:     by_value
      - .offset:         4
        .size:           4
        .value_kind:     by_value
      - .offset:         8
        .size:           8
        .value_kind:     by_value
      - .offset:         16
        .size:           8
        .value_kind:     by_value
      - .offset:         24
        .size:           8
        .value_kind:     by_value
      - .offset:         32
        .size:           8
        .value_kind:     by_value
      - .offset:         40
        .size:           8
        .value_kind:     by_value
      - .actual_access:  read_only
        .address_space:  global
        .offset:         48
        .size:           8
        .value_kind:     global_buffer
      - .actual_access:  write_only
        .address_space:  global
        .offset:         56
        .size:           8
        .value_kind:     global_buffer
    .group_segment_fixed_size: 0
    .kernarg_segment_align: 8
    .kernarg_segment_size: 64
    .language:       OpenCL C
    .language_version:
      - 2
      - 0
    .max_flat_workgroup_size: 256
    .name:           _Z21generate_paths_kernelILi256E9PayoffPutEviiT0_ddddPKdPd
    .private_segment_fixed_size: 0
    .sgpr_count:     48
    .sgpr_spill_count: 0
    .symbol:         _Z21generate_paths_kernelILi256E9PayoffPutEviiT0_ddddPKdPd.kd
    .uniform_work_group_size: 1
    .uses_dynamic_stack: false
    .vgpr_count:     20
    .vgpr_spill_count: 0
    .wavefront_size: 64
  - .args:
      - .offset:         0
        .size:           4
        .value_kind:     by_value
      - .offset:         4
        .size:           4
        .value_kind:     by_value
      - .offset:         8
        .size:           8
        .value_kind:     by_value
      - .actual_access:  read_only
        .address_space:  global
        .offset:         16
        .size:           8
        .value_kind:     global_buffer
      - .actual_access:  write_only
        .address_space:  global
        .offset:         24
        .size:           8
        .value_kind:     global_buffer
      - .actual_access:  write_only
        .address_space:  global
        .offset:         32
        .size:           8
        .value_kind:     global_buffer
    .group_segment_fixed_size: 2192
    .kernarg_segment_align: 8
    .kernarg_segment_size: 40
    .language:       OpenCL C
    .language_version:
      - 2
      - 0
    .max_flat_workgroup_size: 256
    .name:           _Z18prepare_svd_kernelILi256E9PayoffPutEviiT0_PKdPiPd
    .private_segment_fixed_size: 76
    .sgpr_count:     36
    .sgpr_spill_count: 0
    .symbol:         _Z18prepare_svd_kernelILi256E9PayoffPutEviiT0_PKdPiPd.kd
    .uniform_work_group_size: 1
    .uses_dynamic_stack: false
    .vgpr_count:     64
    .vgpr_spill_count: 22
    .wavefront_size: 64
  - .args:
      - .offset:         0
        .size:           4
        .value_kind:     by_value
      - .offset:         8
        .size:           8
        .value_kind:     by_value
      - .actual_access:  read_only
        .address_space:  global
        .offset:         16
        .size:           8
        .value_kind:     global_buffer
      - .actual_access:  read_only
        .address_space:  global
        .offset:         24
        .size:           8
        .value_kind:     global_buffer
      - .actual_access:  read_only
        .address_space:  global
        .offset:         32
        .size:           8
        .value_kind:     global_buffer
      - .actual_access:  read_only
        .address_space:  global
        .offset:         40
        .size:           8
        .value_kind:     global_buffer
      - .actual_access:  write_only
        .address_space:  global
        .offset:         48
        .size:           8
        .value_kind:     global_buffer
      - .offset:         56
        .size:           4
        .value_kind:     hidden_block_count_x
      - .offset:         60
        .size:           4
        .value_kind:     hidden_block_count_y
      - .offset:         64
        .size:           4
        .value_kind:     hidden_block_count_z
      - .offset:         68
        .size:           2
        .value_kind:     hidden_group_size_x
      - .offset:         70
        .size:           2
        .value_kind:     hidden_group_size_y
      - .offset:         72
        .size:           2
        .value_kind:     hidden_group_size_z
      - .offset:         74
        .size:           2
        .value_kind:     hidden_remainder_x
      - .offset:         76
        .size:           2
        .value_kind:     hidden_remainder_y
      - .offset:         78
        .size:           2
        .value_kind:     hidden_remainder_z
      - .offset:         96
        .size:           8
        .value_kind:     hidden_global_offset_x
      - .offset:         104
        .size:           8
        .value_kind:     hidden_global_offset_y
      - .offset:         112
        .size:           8
        .value_kind:     hidden_global_offset_z
      - .offset:         120
        .size:           2
        .value_kind:     hidden_grid_dims
    .group_segment_fixed_size: 120
    .kernarg_segment_align: 8
    .kernarg_segment_size: 312
    .language:       OpenCL C
    .language_version:
      - 2
      - 0
    .max_flat_workgroup_size: 128
    .name:           _Z27compute_partial_beta_kernelILi128E9PayoffPutEviT0_PKdS3_S3_PKiPd
    .private_segment_fixed_size: 100
    .sgpr_count:     28
    .sgpr_spill_count: 0
    .symbol:         _Z27compute_partial_beta_kernelILi128E9PayoffPutEviT0_PKdS3_S3_PKiPd.kd
    .uniform_work_group_size: 1
    .uses_dynamic_stack: false
    .vgpr_count:     32
    .vgpr_spill_count: 24
    .wavefront_size: 64
  - .args:
      - .actual_access:  read_only
        .address_space:  global
        .offset:         0
        .size:           8
        .value_kind:     global_buffer
      - .address_space:  global
        .offset:         8
        .size:           8
        .value_kind:     global_buffer
    .group_segment_fixed_size: 24
    .kernarg_segment_align: 8
    .kernarg_segment_size: 16
    .language:       OpenCL C
    .language_version:
      - 2
      - 0
    .max_flat_workgroup_size: 128
    .name:           _Z25compute_final_beta_kernelILi128EEvPKiPd
    .private_segment_fixed_size: 0
    .sgpr_count:     12
    .sgpr_spill_count: 0
    .symbol:         _Z25compute_final_beta_kernelILi128EEvPKiPd.kd
    .uniform_work_group_size: 1
    .uses_dynamic_stack: false
    .vgpr_count:     11
    .vgpr_spill_count: 0
    .wavefront_size: 64
  - .args:
      - .offset:         0
        .size:           4
        .value_kind:     by_value
      - .offset:         8
        .size:           8
        .value_kind:     by_value
      - .offset:         16
        .size:           8
        .value_kind:     by_value
      - .actual_access:  read_only
        .address_space:  global
        .offset:         24
        .size:           8
        .value_kind:     global_buffer
      - .actual_access:  read_only
        .address_space:  global
        .offset:         32
        .size:           8
        .value_kind:     global_buffer
      - .actual_access:  read_only
        .address_space:  global
        .offset:         40
        .size:           8
        .value_kind:     global_buffer
      - .address_space:  global
        .offset:         48
        .size:           8
        .value_kind:     global_buffer
      - .offset:         56
        .size:           4
        .value_kind:     hidden_block_count_x
      - .offset:         60
        .size:           4
        .value_kind:     hidden_block_count_y
      - .offset:         64
        .size:           4
        .value_kind:     hidden_block_count_z
      - .offset:         68
        .size:           2
        .value_kind:     hidden_group_size_x
      - .offset:         70
        .size:           2
        .value_kind:     hidden_group_size_y
      - .offset:         72
        .size:           2
        .value_kind:     hidden_group_size_z
      - .offset:         74
        .size:           2
        .value_kind:     hidden_remainder_x
      - .offset:         76
        .size:           2
        .value_kind:     hidden_remainder_y
      - .offset:         78
        .size:           2
        .value_kind:     hidden_remainder_z
      - .offset:         96
        .size:           8
        .value_kind:     hidden_global_offset_x
      - .offset:         104
        .size:           8
        .value_kind:     hidden_global_offset_y
      - .offset:         112
        .size:           8
        .value_kind:     hidden_global_offset_z
      - .offset:         120
        .size:           2
        .value_kind:     hidden_grid_dims
    .group_segment_fixed_size: 0
    .kernarg_segment_align: 8
    .kernarg_segment_size: 312
    .language:       OpenCL C
    .language_version:
      - 2
      - 0
    .max_flat_workgroup_size: 128
    .name:           _Z22update_cashflow_kernelILi128E9PayoffPutEviT0_dPKdS3_PKiPd
    .private_segment_fixed_size: 0
    .sgpr_count:     36
    .sgpr_spill_count: 0
    .symbol:         _Z22update_cashflow_kernelILi128E9PayoffPutEviT0_dPKdS3_PKiPd.kd
    .uniform_work_group_size: 1
    .uses_dynamic_stack: false
    .vgpr_count:     15
    .vgpr_spill_count: 0
    .wavefront_size: 64
  - .args:
      - .offset:         0
        .size:           4
        .value_kind:     by_value
      - .actual_access:  read_only
        .address_space:  global
        .offset:         8
        .size:           8
        .value_kind:     global_buffer
      - .actual_access:  write_only
        .address_space:  global
        .offset:         16
        .size:           8
        .value_kind:     global_buffer
    .group_segment_fixed_size: 8
    .kernarg_segment_align: 8
    .kernarg_segment_size: 24
    .language:       OpenCL C
    .language_version:
      - 2
      - 0
    .max_flat_workgroup_size: 128
    .name:           _Z27compute_partial_sums_kernelILi128EEviPKdPd
    .private_segment_fixed_size: 0
    .sgpr_count:     14
    .sgpr_spill_count: 0
    .symbol:         _Z27compute_partial_sums_kernelILi128EEviPKdPd.kd
    .uniform_work_group_size: 1
    .uses_dynamic_stack: false
    .vgpr_count:     7
    .vgpr_spill_count: 0
    .wavefront_size: 64
  - .args:
      - .offset:         0
        .size:           4
        .value_kind:     by_value
      - .offset:         4
        .size:           4
        .value_kind:     by_value
      - .offset:         8
        .size:           8
        .value_kind:     by_value
      - .address_space:  global
        .offset:         16
        .size:           8
        .value_kind:     global_buffer
    .group_segment_fixed_size: 8
    .kernarg_segment_align: 8
    .kernarg_segment_size: 24
    .language:       OpenCL C
    .language_version:
      - 2
      - 0
    .max_flat_workgroup_size: 128
    .name:           _Z24compute_final_sum_kernelILi128EEviidPd
    .private_segment_fixed_size: 0
    .sgpr_count:     16
    .sgpr_spill_count: 0
    .symbol:         _Z24compute_final_sum_kernelILi128EEviidPd.kd
    .uniform_work_group_size: 1
    .uses_dynamic_stack: false
    .vgpr_count:     13
    .vgpr_spill_count: 0
    .wavefront_size: 64
  - .args:
      - .offset:         0
        .size:           4
        .value_kind:     by_value
      - .offset:         4
        .size:           4
        .value_kind:     by_value
      - .offset:         8
        .size:           8
        .value_kind:     by_value
      - .offset:         16
        .size:           8
        .value_kind:     by_value
      - .offset:         24
        .size:           8
        .value_kind:     by_value
      - .offset:         32
        .size:           8
        .value_kind:     by_value
      - .offset:         40
        .size:           8
        .value_kind:     by_value
      - .actual_access:  read_only
        .address_space:  global
        .offset:         48
        .size:           8
        .value_kind:     global_buffer
      - .actual_access:  write_only
        .address_space:  global
        .offset:         56
        .size:           8
        .value_kind:     global_buffer
    .group_segment_fixed_size: 0
    .kernarg_segment_align: 8
    .kernarg_segment_size: 64
    .language:       OpenCL C
    .language_version:
      - 2
      - 0
    .max_flat_workgroup_size: 256
    .name:           _Z21generate_paths_kernelILi256E10PayoffCallEviiT0_ddddPKdPd
    .private_segment_fixed_size: 0
    .sgpr_count:     48
    .sgpr_spill_count: 0
    .symbol:         _Z21generate_paths_kernelILi256E10PayoffCallEviiT0_ddddPKdPd.kd
    .uniform_work_group_size: 1
    .uses_dynamic_stack: false
    .vgpr_count:     20
    .vgpr_spill_count: 0
    .wavefront_size: 64
  - .args:
      - .offset:         0
        .size:           4
        .value_kind:     by_value
      - .offset:         4
        .size:           4
        .value_kind:     by_value
      - .offset:         8
        .size:           8
        .value_kind:     by_value
      - .actual_access:  read_only
        .address_space:  global
        .offset:         16
        .size:           8
        .value_kind:     global_buffer
      - .actual_access:  write_only
        .address_space:  global
        .offset:         24
        .size:           8
        .value_kind:     global_buffer
      - .actual_access:  write_only
        .address_space:  global
        .offset:         32
        .size:           8
        .value_kind:     global_buffer
    .group_segment_fixed_size: 2192
    .kernarg_segment_align: 8
    .kernarg_segment_size: 40
    .language:       OpenCL C
    .language_version:
      - 2
      - 0
    .max_flat_workgroup_size: 256
    .name:           _Z18prepare_svd_kernelILi256E10PayoffCallEviiT0_PKdPiPd
    .private_segment_fixed_size: 76
    .sgpr_count:     36
    .sgpr_spill_count: 0
    .symbol:         _Z18prepare_svd_kernelILi256E10PayoffCallEviiT0_PKdPiPd.kd
    .uniform_work_group_size: 1
    .uses_dynamic_stack: false
    .vgpr_count:     64
    .vgpr_spill_count: 22
    .wavefront_size: 64
  - .args:
      - .offset:         0
        .size:           4
        .value_kind:     by_value
      - .offset:         8
        .size:           8
        .value_kind:     by_value
      - .actual_access:  read_only
        .address_space:  global
        .offset:         16
        .size:           8
        .value_kind:     global_buffer
      - .actual_access:  read_only
        .address_space:  global
        .offset:         24
        .size:           8
        .value_kind:     global_buffer
      - .actual_access:  read_only
        .address_space:  global
        .offset:         32
        .size:           8
        .value_kind:     global_buffer
      - .actual_access:  read_only
        .address_space:  global
        .offset:         40
        .size:           8
        .value_kind:     global_buffer
      - .actual_access:  write_only
        .address_space:  global
        .offset:         48
        .size:           8
        .value_kind:     global_buffer
      - .offset:         56
        .size:           4
        .value_kind:     hidden_block_count_x
      - .offset:         60
        .size:           4
        .value_kind:     hidden_block_count_y
      - .offset:         64
        .size:           4
        .value_kind:     hidden_block_count_z
      - .offset:         68
        .size:           2
        .value_kind:     hidden_group_size_x
      - .offset:         70
        .size:           2
        .value_kind:     hidden_group_size_y
      - .offset:         72
        .size:           2
        .value_kind:     hidden_group_size_z
      - .offset:         74
        .size:           2
        .value_kind:     hidden_remainder_x
      - .offset:         76
        .size:           2
        .value_kind:     hidden_remainder_y
      - .offset:         78
        .size:           2
        .value_kind:     hidden_remainder_z
      - .offset:         96
        .size:           8
        .value_kind:     hidden_global_offset_x
      - .offset:         104
        .size:           8
        .value_kind:     hidden_global_offset_y
      - .offset:         112
        .size:           8
        .value_kind:     hidden_global_offset_z
      - .offset:         120
        .size:           2
        .value_kind:     hidden_grid_dims
    .group_segment_fixed_size: 120
    .kernarg_segment_align: 8
    .kernarg_segment_size: 312
    .language:       OpenCL C
    .language_version:
      - 2
      - 0
    .max_flat_workgroup_size: 128
    .name:           _Z27compute_partial_beta_kernelILi128E10PayoffCallEviT0_PKdS3_S3_PKiPd
    .private_segment_fixed_size: 100
    .sgpr_count:     28
    .sgpr_spill_count: 0
    .symbol:         _Z27compute_partial_beta_kernelILi128E10PayoffCallEviT0_PKdS3_S3_PKiPd.kd
    .uniform_work_group_size: 1
    .uses_dynamic_stack: false
    .vgpr_count:     32
    .vgpr_spill_count: 24
    .wavefront_size: 64
  - .args:
      - .offset:         0
        .size:           4
        .value_kind:     by_value
      - .offset:         8
        .size:           8
        .value_kind:     by_value
      - .offset:         16
        .size:           8
        .value_kind:     by_value
      - .actual_access:  read_only
        .address_space:  global
        .offset:         24
        .size:           8
        .value_kind:     global_buffer
      - .actual_access:  read_only
        .address_space:  global
        .offset:         32
        .size:           8
        .value_kind:     global_buffer
      - .actual_access:  read_only
        .address_space:  global
        .offset:         40
        .size:           8
        .value_kind:     global_buffer
      - .address_space:  global
        .offset:         48
        .size:           8
        .value_kind:     global_buffer
      - .offset:         56
        .size:           4
        .value_kind:     hidden_block_count_x
      - .offset:         60
        .size:           4
        .value_kind:     hidden_block_count_y
      - .offset:         64
        .size:           4
        .value_kind:     hidden_block_count_z
      - .offset:         68
        .size:           2
        .value_kind:     hidden_group_size_x
      - .offset:         70
        .size:           2
        .value_kind:     hidden_group_size_y
      - .offset:         72
        .size:           2
        .value_kind:     hidden_group_size_z
      - .offset:         74
        .size:           2
        .value_kind:     hidden_remainder_x
      - .offset:         76
        .size:           2
        .value_kind:     hidden_remainder_y
      - .offset:         78
        .size:           2
        .value_kind:     hidden_remainder_z
      - .offset:         96
        .size:           8
        .value_kind:     hidden_global_offset_x
      - .offset:         104
        .size:           8
        .value_kind:     hidden_global_offset_y
      - .offset:         112
        .size:           8
        .value_kind:     hidden_global_offset_z
      - .offset:         120
        .size:           2
        .value_kind:     hidden_grid_dims
    .group_segment_fixed_size: 0
    .kernarg_segment_align: 8
    .kernarg_segment_size: 312
    .language:       OpenCL C
    .language_version:
      - 2
      - 0
    .max_flat_workgroup_size: 128
    .name:           _Z22update_cashflow_kernelILi128E10PayoffCallEviT0_dPKdS3_PKiPd
    .private_segment_fixed_size: 0
    .sgpr_count:     36
    .sgpr_spill_count: 0
    .symbol:         _Z22update_cashflow_kernelILi128E10PayoffCallEviT0_dPKdS3_PKiPd.kd
    .uniform_work_group_size: 1
    .uses_dynamic_stack: false
    .vgpr_count:     15
    .vgpr_spill_count: 0
    .wavefront_size: 64
amdhsa.target:   amdgcn-amd-amdhsa--gfx906
amdhsa.version:
  - 1
  - 2
...

	.end_amdgpu_metadata
